;; amdgpu-corpus repo=ROCm/rocFFT kind=compiled arch=gfx1030 opt=O3
	.text
	.amdgcn_target "amdgcn-amd-amdhsa--gfx1030"
	.amdhsa_code_object_version 6
	.protected	bluestein_single_fwd_len1496_dim1_half_op_CI_CI ; -- Begin function bluestein_single_fwd_len1496_dim1_half_op_CI_CI
	.globl	bluestein_single_fwd_len1496_dim1_half_op_CI_CI
	.p2align	8
	.type	bluestein_single_fwd_len1496_dim1_half_op_CI_CI,@function
bluestein_single_fwd_len1496_dim1_half_op_CI_CI: ; @bluestein_single_fwd_len1496_dim1_half_op_CI_CI
; %bb.0:
	s_load_dwordx4 s[0:3], s[4:5], 0x28
	v_mul_u32_u24_e32 v1, 0x15f, v0
	v_mov_b32_e32 v16, 0
	v_lshrrev_b32_e32 v1, 16, v1
	v_add_nc_u32_e32 v15, s6, v1
	s_waitcnt lgkmcnt(0)
	v_cmp_gt_u64_e32 vcc_lo, s[0:1], v[15:16]
	s_and_saveexec_b32 s0, vcc_lo
	s_cbranch_execz .LBB0_23
; %bb.1:
	v_mul_lo_u16 v1, 0xbb, v1
	s_clause 0x1
	s_load_dwordx2 s[12:13], s[4:5], 0x0
	s_load_dwordx2 s[14:15], s[4:5], 0x38
	v_sub_nc_u16 v0, v0, v1
	v_and_b32_e32 v38, 0xffff, v0
	v_cmp_gt_u16_e32 vcc_lo, 0x58, v0
	v_lshlrev_b32_e32 v37, 2, v38
	v_or_b32_e32 v36, 0x580, v38
	s_and_saveexec_b32 s1, vcc_lo
	s_cbranch_execz .LBB0_3
; %bb.2:
	s_load_dwordx2 s[6:7], s[4:5], 0x18
	s_waitcnt lgkmcnt(0)
	v_add_co_u32 v10, s0, s12, v37
	v_add_co_ci_u32_e64 v11, null, s13, 0, s0
	v_add_nc_u32_e32 v40, 0x800, v37
	v_add_nc_u32_e32 v41, 0xa00, v37
	;; [unrolled: 1-line block ×5, first 2 shown]
	s_load_dwordx4 s[8:11], s[6:7], 0x0
	s_clause 0x4
	global_load_dword v12, v37, s[12:13] offset:352
	global_load_dword v13, v37, s[12:13] offset:704
	;; [unrolled: 1-line block ×5, first 2 shown]
	s_waitcnt lgkmcnt(0)
	v_mad_u64_u32 v[0:1], null, s10, v15, 0
	v_mad_u64_u32 v[2:3], null, s8, v38, 0
	;; [unrolled: 1-line block ×3, first 2 shown]
	s_mul_i32 s0, s9, 0x160
	s_mul_hi_u32 s6, s8, 0x160
	s_mul_i32 s7, s8, 0x160
	s_add_i32 s6, s6, s0
	v_mad_u64_u32 v[6:7], null, s11, v15, v[1:2]
	v_mad_u64_u32 v[7:8], null, s9, v38, v[3:4]
	;; [unrolled: 1-line block ×3, first 2 shown]
	v_mov_b32_e32 v1, v6
	v_mov_b32_e32 v3, v7
	v_lshlrev_b32_e32 v6, 2, v36
	v_lshlrev_b64 v[0:1], 2, v[0:1]
	v_mov_b32_e32 v5, v8
	v_lshlrev_b64 v[2:3], 2, v[2:3]
	v_add_co_u32 v7, s0, s2, v0
	v_add_co_ci_u32_e64 v8, s0, s3, v1, s0
	v_lshlrev_b64 v[0:1], 2, v[4:5]
	v_add_co_u32 v2, s0, v7, v2
	v_add_co_ci_u32_e64 v3, s0, v8, v3, s0
	v_add_co_u32 v0, s0, v7, v0
	v_add_co_ci_u32_e64 v1, s0, v8, v1, s0
	;; [unrolled: 2-line block ×3, first 2 shown]
	s_clause 0x1
	global_load_dword v8, v37, s[12:13]
	global_load_dword v9, v6, s[12:13]
	s_clause 0x2
	global_load_dword v18, v[2:3], off
	global_load_dword v19, v[0:1], off
	;; [unrolled: 1-line block ×3, first 2 shown]
	v_add_co_u32 v0, s0, v4, s7
	v_add_co_ci_u32_e64 v1, s0, s6, v5, s0
	v_add_co_u32 v2, s0, 0x800, v10
	v_add_co_ci_u32_e64 v3, s0, 0, v11, s0
	global_load_dword v21, v[0:1], off
	v_add_co_u32 v0, s0, v0, s7
	v_add_co_ci_u32_e64 v1, s0, s6, v1, s0
	global_load_dword v22, v[2:3], off offset:64
	v_add_co_u32 v4, s0, v0, s7
	v_add_co_ci_u32_e64 v5, s0, s6, v1, s0
	global_load_dword v23, v[0:1], off
	v_add_co_u32 v0, s0, v4, s7
	v_add_co_ci_u32_e64 v1, s0, s6, v5, s0
	global_load_dword v24, v[4:5], off
	;; [unrolled: 3-line block ×4, first 2 shown]
	v_add_co_u32 v4, s0, v0, s7
	v_add_co_ci_u32_e64 v5, s0, s6, v1, s0
	v_add_co_u32 v6, s0, 0x1000, v10
	v_add_co_ci_u32_e64 v7, s0, 0, v11, s0
	global_load_dword v10, v[2:3], off offset:416
	global_load_dword v11, v[0:1], off
	global_load_dword v27, v[4:5], off
	v_add_co_u32 v0, s0, v4, s7
	v_add_co_ci_u32_e64 v1, s0, s6, v5, s0
	s_clause 0x3
	global_load_dword v4, v[2:3], off offset:768
	global_load_dword v5, v[2:3], off offset:1120
	;; [unrolled: 1-line block ×4, first 2 shown]
	global_load_dword v30, v[0:1], off
	v_add_co_u32 v0, s0, v0, s7
	v_add_co_ci_u32_e64 v1, s0, s6, v1, s0
	global_load_dword v31, v[6:7], off offset:128
	v_add_co_u32 v2, s0, v0, s7
	v_add_co_ci_u32_e64 v3, s0, s6, v1, s0
	global_load_dword v32, v[0:1], off
	v_add_co_u32 v0, s0, v2, s7
	v_add_co_ci_u32_e64 v1, s0, s6, v3, s0
	global_load_dword v33, v[2:3], off
	;; [unrolled: 3-line block ×4, first 2 shown]
	v_add_co_u32 v2, s0, v0, s7
	v_add_co_ci_u32_e64 v3, s0, s6, v1, s0
	global_load_dword v39, v[6:7], off offset:480
	global_load_dword v0, v[0:1], off
	global_load_dword v1, v[2:3], off
	s_clause 0x1
	global_load_dword v2, v[6:7], off offset:832
	global_load_dword v3, v[6:7], off offset:1184
	v_add_nc_u32_e32 v6, 0x200, v37
	v_add_nc_u32_e32 v7, 0x400, v37
	s_waitcnt vmcnt(26)
	v_lshrrev_b32_e32 v44, 16, v18
	v_mul_f16_sdwa v45, v8, v18 dst_sel:DWORD dst_unused:UNUSED_PAD src0_sel:WORD_1 src1_sel:DWORD
	s_waitcnt vmcnt(25)
	v_lshrrev_b32_e32 v47, 16, v19
	s_waitcnt vmcnt(24)
	v_mul_f16_sdwa v50, v12, v20 dst_sel:DWORD dst_unused:UNUSED_PAD src0_sel:WORD_1 src1_sel:DWORD
	v_mul_f16_sdwa v48, v9, v19 dst_sel:DWORD dst_unused:UNUSED_PAD src0_sel:WORD_1 src1_sel:DWORD
	;; [unrolled: 1-line block ×3, first 2 shown]
	v_fma_f16 v44, v8, v44, -v45
	v_lshrrev_b32_e32 v45, 16, v20
	v_mul_f16_sdwa v51, v9, v47 dst_sel:DWORD dst_unused:UNUSED_PAD src0_sel:WORD_1 src1_sel:DWORD
	v_fma_f16 v47, v9, v47, -v48
	v_fmac_f16_e32 v49, v8, v18
	s_waitcnt vmcnt(23)
	v_mul_f16_sdwa v48, v13, v21 dst_sel:DWORD dst_unused:UNUSED_PAD src0_sel:WORD_1 src1_sel:DWORD
	v_mul_f16_sdwa v8, v12, v45 dst_sel:DWORD dst_unused:UNUSED_PAD src0_sel:WORD_1 src1_sel:DWORD
	v_fma_f16 v18, v12, v45, -v50
	v_lshrrev_b32_e32 v45, 16, v21
	v_fmac_f16_e32 v51, v9, v19
	v_pack_b32_f16 v9, v49, v44
	v_fmac_f16_e32 v8, v12, v20
	v_mul_f16_sdwa v12, v13, v45 dst_sel:DWORD dst_unused:UNUSED_PAD src0_sel:WORD_1 src1_sel:DWORD
	v_fma_f16 v19, v13, v45, -v48
	s_waitcnt vmcnt(21)
	v_lshrrev_b32_e32 v20, 16, v23
	v_mul_f16_sdwa v44, v14, v23 dst_sel:DWORD dst_unused:UNUSED_PAD src0_sel:WORD_1 src1_sel:DWORD
	v_pack_b32_f16 v8, v8, v18
	v_fmac_f16_e32 v12, v13, v21
	v_pack_b32_f16 v45, v51, v47
	v_mul_f16_sdwa v13, v14, v20 dst_sel:DWORD dst_unused:UNUSED_PAD src0_sel:WORD_1 src1_sel:DWORD
	v_fma_f16 v18, v14, v20, -v44
	s_waitcnt vmcnt(20)
	v_lshrrev_b32_e32 v20, 16, v24
	v_mul_f16_sdwa v21, v16, v24 dst_sel:DWORD dst_unused:UNUSED_PAD src0_sel:WORD_1 src1_sel:DWORD
	ds_write2_b32 v37, v9, v8 offset1:88
	v_pack_b32_f16 v8, v12, v19
	v_fmac_f16_e32 v13, v14, v23
	v_mul_f16_sdwa v9, v16, v20 dst_sel:DWORD dst_unused:UNUSED_PAD src0_sel:WORD_1 src1_sel:DWORD
	s_waitcnt vmcnt(19)
	v_lshrrev_b32_e32 v12, 16, v25
	v_mul_f16_sdwa v14, v17, v25 dst_sel:DWORD dst_unused:UNUSED_PAD src0_sel:WORD_1 src1_sel:DWORD
	v_fma_f16 v19, v16, v20, -v21
	v_pack_b32_f16 v13, v13, v18
	v_fmac_f16_e32 v9, v16, v24
	v_mul_f16_sdwa v16, v17, v12 dst_sel:DWORD dst_unused:UNUSED_PAD src0_sel:WORD_1 src1_sel:DWORD
	v_fma_f16 v12, v17, v12, -v14
	s_waitcnt vmcnt(18)
	v_lshrrev_b32_e32 v14, 16, v26
	v_mul_f16_sdwa v18, v22, v26 dst_sel:DWORD dst_unused:UNUSED_PAD src0_sel:WORD_1 src1_sel:DWORD
	ds_write2_b32 v6, v8, v13 offset0:48 offset1:136
	v_pack_b32_f16 v6, v9, v19
	v_fmac_f16_e32 v16, v17, v25
	v_mul_f16_sdwa v8, v22, v14 dst_sel:DWORD dst_unused:UNUSED_PAD src0_sel:WORD_1 src1_sel:DWORD
	s_waitcnt vmcnt(16)
	v_lshrrev_b32_e32 v9, 16, v11
	v_mul_f16_sdwa v13, v10, v11 dst_sel:DWORD dst_unused:UNUSED_PAD src0_sel:WORD_1 src1_sel:DWORD
	v_fma_f16 v14, v22, v14, -v18
	v_pack_b32_f16 v12, v16, v12
	v_fmac_f16_e32 v8, v22, v26
	v_mul_f16_sdwa v16, v10, v9 dst_sel:DWORD dst_unused:UNUSED_PAD src0_sel:WORD_1 src1_sel:DWORD
	v_fma_f16 v9, v10, v9, -v13
	s_waitcnt vmcnt(15)
	v_lshrrev_b32_e32 v13, 16, v27
	s_waitcnt vmcnt(14)
	v_mul_f16_sdwa v17, v4, v27 dst_sel:DWORD dst_unused:UNUSED_PAD src0_sel:WORD_1 src1_sel:DWORD
	ds_write2_b32 v7, v6, v12 offset0:96 offset1:184
	v_pack_b32_f16 v6, v8, v14
	s_waitcnt vmcnt(10)
	v_lshrrev_b32_e32 v8, 16, v30
	v_mul_f16_sdwa v7, v4, v13 dst_sel:DWORD dst_unused:UNUSED_PAD src0_sel:WORD_1 src1_sel:DWORD
	v_fmac_f16_e32 v16, v10, v11
	v_fma_f16 v10, v4, v13, -v17
	v_mul_f16_sdwa v11, v5, v30 dst_sel:DWORD dst_unused:UNUSED_PAD src0_sel:WORD_1 src1_sel:DWORD
	s_waitcnt vmcnt(8)
	v_lshrrev_b32_e32 v12, 16, v32
	v_fmac_f16_e32 v7, v4, v27
	v_mul_f16_sdwa v4, v5, v8 dst_sel:DWORD dst_unused:UNUSED_PAD src0_sel:WORD_1 src1_sel:DWORD
	v_mul_f16_sdwa v13, v28, v32 dst_sel:DWORD dst_unused:UNUSED_PAD src0_sel:WORD_1 src1_sel:DWORD
	v_fma_f16 v8, v5, v8, -v11
	s_waitcnt vmcnt(7)
	v_lshrrev_b32_e32 v11, 16, v33
	v_pack_b32_f16 v7, v7, v10
	v_fmac_f16_e32 v4, v5, v30
	v_mul_f16_sdwa v5, v28, v12 dst_sel:DWORD dst_unused:UNUSED_PAD src0_sel:WORD_1 src1_sel:DWORD
	v_fma_f16 v10, v28, v12, -v13
	v_mul_f16_sdwa v12, v29, v33 dst_sel:DWORD dst_unused:UNUSED_PAD src0_sel:WORD_1 src1_sel:DWORD
	v_mul_f16_sdwa v13, v29, v11 dst_sel:DWORD dst_unused:UNUSED_PAD src0_sel:WORD_1 src1_sel:DWORD
	v_pack_b32_f16 v4, v4, v8
	v_fmac_f16_e32 v5, v28, v32
	s_waitcnt vmcnt(6)
	v_lshrrev_b32_e32 v8, 16, v34
	v_fma_f16 v11, v29, v11, -v12
	v_mul_f16_sdwa v12, v31, v34 dst_sel:DWORD dst_unused:UNUSED_PAD src0_sel:WORD_1 src1_sel:DWORD
	s_waitcnt vmcnt(5)
	v_lshrrev_b32_e32 v14, 16, v35
	v_pack_b32_f16 v9, v16, v9
	v_pack_b32_f16 v5, v5, v10
	v_mul_f16_sdwa v10, v31, v8 dst_sel:DWORD dst_unused:UNUSED_PAD src0_sel:WORD_1 src1_sel:DWORD
	v_fma_f16 v8, v31, v8, -v12
	s_waitcnt vmcnt(4)
	v_mul_f16_sdwa v12, v39, v35 dst_sel:DWORD dst_unused:UNUSED_PAD src0_sel:WORD_1 src1_sel:DWORD
	s_waitcnt vmcnt(3)
	v_lshrrev_b32_e32 v16, 16, v0
	s_waitcnt vmcnt(2)
	v_lshrrev_b32_e32 v18, 16, v1
	v_mul_f16_sdwa v17, v39, v14 dst_sel:DWORD dst_unused:UNUSED_PAD src0_sel:WORD_1 src1_sel:DWORD
	s_waitcnt vmcnt(0)
	v_mul_f16_sdwa v20, v3, v1 dst_sel:DWORD dst_unused:UNUSED_PAD src0_sel:WORD_1 src1_sel:DWORD
	v_fma_f16 v12, v39, v14, -v12
	v_mul_f16_sdwa v14, v2, v0 dst_sel:DWORD dst_unused:UNUSED_PAD src0_sel:WORD_1 src1_sel:DWORD
	v_mul_f16_sdwa v19, v2, v16 dst_sel:DWORD dst_unused:UNUSED_PAD src0_sel:WORD_1 src1_sel:DWORD
	;; [unrolled: 1-line block ×3, first 2 shown]
	v_fmac_f16_e32 v13, v29, v33
	v_fmac_f16_e32 v10, v31, v34
	;; [unrolled: 1-line block ×3, first 2 shown]
	v_fma_f16 v14, v2, v16, -v14
	v_fmac_f16_e32 v19, v2, v0
	v_fma_f16 v0, v3, v18, -v20
	v_fmac_f16_e32 v21, v3, v1
	v_pack_b32_f16 v1, v13, v11
	v_pack_b32_f16 v2, v10, v8
	v_pack_b32_f16 v3, v17, v12
	v_pack_b32_f16 v8, v19, v14
	v_pack_b32_f16 v0, v21, v0
	ds_write2_b32 v40, v6, v9 offset0:16 offset1:104
	ds_write2_b32 v41, v7, v4 offset0:64 offset1:152
	;; [unrolled: 1-line block ×5, first 2 shown]
	ds_write_b32 v37, v45 offset:5632
.LBB0_3:
	s_or_b32 exec_lo, exec_lo, s1
	s_load_dwordx2 s[0:1], s[4:5], 0x20
	v_mov_b32_e32 v0, 0
	s_waitcnt lgkmcnt(0)
	s_barrier
	buffer_gl0_inv
                                        ; implicit-def: $vgpr9
                                        ; implicit-def: $vgpr6
                                        ; implicit-def: $vgpr13
                                        ; implicit-def: $vgpr4
                                        ; implicit-def: $vgpr11
                                        ; implicit-def: $vgpr2
                                        ; implicit-def: $vgpr23
                                        ; implicit-def: $vgpr14
	s_and_saveexec_b32 s2, vcc_lo
	s_cbranch_execz .LBB0_5
; %bb.4:
	v_add_nc_u32_e32 v2, 0x200, v37
	v_add_nc_u32_e32 v3, 0x400, v37
	;; [unrolled: 1-line block ×3, first 2 shown]
	ds_read2_b32 v[0:1], v37 offset1:88
	v_add_nc_u32_e32 v5, 0x1000, v37
	ds_read2_b32 v[22:23], v2 offset0:48 offset1:136
	ds_read2_b32 v[10:11], v3 offset0:96 offset1:184
	v_add_nc_u32_e32 v2, 0xa00, v37
	v_add_nc_u32_e32 v3, 0xc00, v37
	;; [unrolled: 1-line block ×3, first 2 shown]
	ds_read2_b32 v[12:13], v4 offset0:16 offset1:104
	ds_read2_b32 v[8:9], v2 offset0:64 offset1:152
	;; [unrolled: 1-line block ×5, first 2 shown]
	ds_read_b32 v14, v37 offset:5632
.LBB0_5:
	s_or_b32 exec_lo, exec_lo, s2
	s_waitcnt lgkmcnt(0)
	v_pk_add_f16 v46, v1, v14 neg_lo:[0,1] neg_hi:[0,1]
	v_mov_b32_e32 v39, 0xb964
	v_pk_add_f16 v47, v14, v1
	v_mov_b32_e32 v54, 0xbb29
	v_mov_b32_e32 v44, 0xbbf7
	v_pk_add_f16 v65, v22, v3 neg_lo:[0,1] neg_hi:[0,1]
	v_mul_f16_sdwa v20, v46, v39 dst_sel:DWORD dst_unused:UNUSED_PAD src0_sel:WORD_1 src1_sel:DWORD
	v_mov_b32_e32 v41, 0xba62
	v_mul_f16_sdwa v26, v46, v54 dst_sel:DWORD dst_unused:UNUSED_PAD src0_sel:WORD_1 src1_sel:DWORD
	v_pk_add_f16 v50, v3, v22
	v_mul_f16_sdwa v24, v65, v44 dst_sel:DWORD dst_unused:UNUSED_PAD src0_sel:WORD_1 src1_sel:DWORD
	v_fmamk_f16 v16, v47, 0x39e9, v20
	v_pk_add_f16 v58, v23, v2 neg_lo:[0,1] neg_hi:[0,1]
	v_mul_f16_sdwa v27, v65, v41 dst_sel:DWORD dst_unused:UNUSED_PAD src0_sel:WORD_1 src1_sel:DWORD
	v_fmamk_f16 v17, v47, 0x3722, v26
	v_fmamk_f16 v18, v50, 0x2de8, v24
	v_mov_b32_e32 v21, 0x31e1
	v_mov_b32_e32 v40, 0xb1e1
	v_pk_add_f16 v53, v2, v23
	v_mul_f16_sdwa v25, v58, v41 dst_sel:DWORD dst_unused:UNUSED_PAD src0_sel:WORD_1 src1_sel:DWORD
	v_pk_add_f16 v56, v10, v5 neg_lo:[0,1] neg_hi:[0,1]
	v_add_f16_e32 v16, v16, v0
	v_fmamk_f16 v19, v50, 0xb8d2, v27
	v_mov_b32_e32 v55, 0x3836
	v_mul_f16_sdwa v29, v58, v21 dst_sel:DWORD dst_unused:UNUSED_PAD src0_sel:WORD_1 src1_sel:DWORD
	v_mov_b32_e32 v71, 0x3bb2
	v_fmamk_f16 v32, v53, 0xb8d2, v25
	v_pk_add_f16 v48, v5, v10
	v_pk_add_f16 v45, v11, v4 neg_lo:[0,1] neg_hi:[0,1]
	v_mul_f16_sdwa v30, v56, v40 dst_sel:DWORD dst_unused:UNUSED_PAD src0_sel:WORD_1 src1_sel:DWORD
	v_add_f16_e32 v17, v17, v0
	v_add_f16_e32 v16, v18, v16
	v_fmamk_f16 v33, v53, 0xbbdd, v29
	v_mov_b32_e32 v43, 0x3964
	v_mul_f16_sdwa v31, v56, v71 dst_sel:DWORD dst_unused:UNUSED_PAD src0_sel:WORD_1 src1_sel:DWORD
	v_pk_add_f16 v52, v4, v11
	v_mul_f16_sdwa v28, v45, v55 dst_sel:DWORD dst_unused:UNUSED_PAD src0_sel:WORD_1 src1_sel:DWORD
	v_fmamk_f16 v49, v48, 0xbbdd, v30
	v_pk_add_f16 v98, v12, v7 neg_lo:[0,1] neg_hi:[0,1]
	v_add_f16_e32 v17, v19, v17
	v_add_f16_e32 v16, v32, v16
	v_mov_b32_e32 v42, 0xb5c8
	v_fmamk_f16 v51, v48, 0xb461, v31
	v_fmamk_f16 v57, v52, 0xbacd, v28
	v_mul_f16_sdwa v34, v45, v43 dst_sel:DWORD dst_unused:UNUSED_PAD src0_sel:WORD_1 src1_sel:DWORD
	v_pk_add_f16 v63, v7, v12
	v_mul_f16_sdwa v32, v98, v71 dst_sel:DWORD dst_unused:UNUSED_PAD src0_sel:WORD_1 src1_sel:DWORD
	v_add_f16_e32 v17, v33, v17
	v_add_f16_e32 v16, v49, v16
	v_mov_b32_e32 v21, 0x3b29
	v_fmamk_f16 v18, v52, 0x39e9, v34
	v_mul_f16_sdwa v35, v98, v42 dst_sel:DWORD dst_unused:UNUSED_PAD src0_sel:WORD_1 src1_sel:DWORD
	v_pk_add_f16 v103, v13, v6 neg_lo:[0,1] neg_hi:[0,1]
	v_fmamk_f16 v19, v63, 0xb461, v32
	v_add_f16_e32 v17, v51, v17
	v_add_f16_e32 v16, v57, v16
	v_pk_add_f16 v64, v6, v13
	v_mul_f16_sdwa v33, v103, v21 dst_sel:DWORD dst_unused:UNUSED_PAD src0_sel:WORD_1 src1_sel:DWORD
	v_fmamk_f16 v49, v63, 0x3b76, v35
	v_add_f16_e32 v17, v18, v17
	v_mul_f16_sdwa v51, v103, v44 dst_sel:DWORD dst_unused:UNUSED_PAD src0_sel:WORD_1 src1_sel:DWORD
	v_add_f16_e32 v16, v19, v16
	v_mov_b32_e32 v19, 0x35c8
	v_pk_add_f16 v57, v8, v9 neg_lo:[0,1] neg_hi:[0,1]
	v_mov_b32_e32 v120, 0xbbb2
	v_fmamk_f16 v18, v64, 0x3722, v33
	v_add_f16_e32 v17, v49, v17
	v_fmamk_f16 v59, v64, 0x2de8, v51
	v_pk_add_f16 v77, v9, v8
	v_mul_f16_sdwa v49, v57, v19 dst_sel:DWORD dst_unused:UNUSED_PAD src0_sel:WORD_1 src1_sel:DWORD
	v_mul_f16_sdwa v67, v46, v44 dst_sel:DWORD dst_unused:UNUSED_PAD src0_sel:WORD_1 src1_sel:DWORD
	v_mul_f16_sdwa v81, v46, v120 dst_sel:DWORD dst_unused:UNUSED_PAD src0_sel:WORD_1 src1_sel:DWORD
	v_add_f16_e32 v16, v18, v16
	v_add_f16_e32 v18, v59, v17
	v_fmamk_f16 v17, v77, 0x3b76, v49
	v_fmamk_f16 v59, v47, 0x2de8, v67
	v_mul_f16_sdwa v68, v65, v40 dst_sel:DWORD dst_unused:UNUSED_PAD src0_sel:WORD_1 src1_sel:DWORD
	v_fmamk_f16 v60, v47, 0xb461, v81
	v_mul_f16_sdwa v82, v65, v55 dst_sel:DWORD dst_unused:UNUSED_PAD src0_sel:WORD_1 src1_sel:DWORD
	v_add_f16_e32 v17, v17, v16
	v_add_f16_e32 v16, v59, v0
	v_fmamk_f16 v55, v50, 0xbbdd, v68
	v_add_f16_e32 v59, v60, v0
	v_fmamk_f16 v60, v50, 0xbacd, v82
	v_mul_f16_sdwa v70, v58, v71 dst_sel:DWORD dst_unused:UNUSED_PAD src0_sel:WORD_1 src1_sel:DWORD
	v_mul_f16_sdwa v83, v58, v43 dst_sel:DWORD dst_unused:UNUSED_PAD src0_sel:WORD_1 src1_sel:DWORD
	v_add_f16_e32 v16, v55, v16
	v_mul_f16_sdwa v66, v56, v19 dst_sel:DWORD dst_unused:UNUSED_PAD src0_sel:WORD_1 src1_sel:DWORD
	v_add_f16_e32 v59, v60, v59
	v_fmamk_f16 v60, v53, 0xb461, v70
	v_fmamk_f16 v19, v53, 0x39e9, v83
	v_mul_f16_sdwa v85, v56, v54 dst_sel:DWORD dst_unused:UNUSED_PAD src0_sel:WORD_1 src1_sel:DWORD
	v_mov_b32_e32 v100, 0xb836
	v_mul_f16_sdwa v69, v45, v54 dst_sel:DWORD dst_unused:UNUSED_PAD src0_sel:WORD_1 src1_sel:DWORD
	v_add_f16_e32 v16, v60, v16
	v_fmamk_f16 v60, v48, 0x3b76, v66
	v_add_f16_e32 v19, v19, v59
	v_fmamk_f16 v59, v48, 0x3722, v85
	v_mul_f16_sdwa v86, v45, v40 dst_sel:DWORD dst_unused:UNUSED_PAD src0_sel:WORD_1 src1_sel:DWORD
	v_mov_b32_e32 v93, 0x3bf7
	v_add_f16_e32 v16, v60, v16
	v_mul_f16_sdwa v72, v98, v100 dst_sel:DWORD dst_unused:UNUSED_PAD src0_sel:WORD_1 src1_sel:DWORD
	v_add_f16_e32 v19, v59, v19
	v_fmamk_f16 v59, v52, 0x3722, v69
	v_fmamk_f16 v60, v52, 0xbbdd, v86
	v_mul_f16_sdwa v84, v98, v93 dst_sel:DWORD dst_unused:UNUSED_PAD src0_sel:WORD_1 src1_sel:DWORD
	v_mov_b32_e32 v88, 0x3a62
	v_mul_f16_sdwa v55, v57, v100 dst_sel:DWORD dst_unused:UNUSED_PAD src0_sel:WORD_1 src1_sel:DWORD
	v_add_f16_e32 v16, v59, v16
	v_add_f16_e32 v19, v60, v19
	v_fmamk_f16 v59, v63, 0xbacd, v72
	v_fmamk_f16 v60, v63, 0x2de8, v84
	v_mul_f16_sdwa v74, v103, v88 dst_sel:DWORD dst_unused:UNUSED_PAD src0_sel:WORD_1 src1_sel:DWORD
	v_mul_f16_sdwa v80, v103, v42 dst_sel:DWORD dst_unused:UNUSED_PAD src0_sel:WORD_1 src1_sel:DWORD
	v_fmamk_f16 v61, v77, 0xbacd, v55
	v_add_f16_e32 v62, v59, v16
	v_add_f16_e32 v19, v60, v19
	v_fmamk_f16 v60, v64, 0xb8d2, v74
	v_fmamk_f16 v75, v64, 0x3b76, v80
	v_mul_f16_sdwa v73, v57, v43 dst_sel:DWORD dst_unused:UNUSED_PAD src0_sel:WORD_1 src1_sel:DWORD
	v_mul_f16_sdwa v59, v46, v42 dst_sel:DWORD dst_unused:UNUSED_PAD src0_sel:WORD_1 src1_sel:DWORD
	v_add_f16_e32 v16, v61, v18
	v_add_f16_e32 v18, v60, v62
	;; [unrolled: 1-line block ×3, first 2 shown]
	v_fmamk_f16 v19, v77, 0x39e9, v73
	v_mul_f16_sdwa v87, v57, v41 dst_sel:DWORD dst_unused:UNUSED_PAD src0_sel:WORD_1 src1_sel:DWORD
	v_fmamk_f16 v62, v47, 0x3b76, v59
	v_lshrrev_b32_e32 v145, 16, v47
	v_mul_f16_e32 v61, 0xb5c8, v46
	v_mul_f16_sdwa v60, v65, v39 dst_sel:DWORD dst_unused:UNUSED_PAD src0_sel:WORD_1 src1_sel:DWORD
	v_add_f16_e32 v19, v19, v18
	v_fmamk_f16 v18, v77, 0xb8d2, v87
	v_add_f16_e32 v78, v62, v0
	v_fma_f16 v79, v145, 0x3b76, -v61
	v_lshrrev_b32_e32 v119, 16, v50
	v_mul_f16_e32 v62, 0xb964, v65
	v_fmamk_f16 v89, v50, 0x39e9, v60
	v_mul_f16_e32 v75, 0xb964, v46
	v_add_f16_e32 v18, v18, v76
	v_add_f16_sdwa v79, v79, v0 dst_sel:DWORD dst_unused:UNUSED_PAD src0_sel:DWORD src1_sel:WORD_1
	v_fma_f16 v90, v119, 0x39e9, -v62
	v_add_f16_e32 v78, v89, v78
	v_fma_f16 v91, v145, 0x39e9, -v75
	v_mul_f16_e32 v89, 0xbb29, v46
	v_mul_f16_e32 v76, 0xbbf7, v65
	v_add_f16_e32 v79, v90, v79
	v_mul_f16_e32 v95, 0xbbf7, v46
	v_add_f16_sdwa v91, v91, v0 dst_sel:DWORD dst_unused:UNUSED_PAD src0_sel:DWORD src1_sel:WORD_1
	v_fma_f16 v92, v145, 0x3722, -v89
	v_fma_f16 v94, v119, 0x2de8, -v76
	v_mul_f16_e32 v90, 0xba62, v65
	v_mul_f16_e32 v106, 0xbbb2, v46
	v_fma_f16 v97, v145, 0x2de8, -v95
	v_mul_f16_e32 v96, 0xb1e1, v65
	v_add_f16_sdwa v92, v92, v0 dst_sel:DWORD dst_unused:UNUSED_PAD src0_sel:DWORD src1_sel:WORD_1
	v_fma_f16 v99, v119, 0xb8d2, -v90
	v_add_f16_e32 v91, v94, v91
	v_fma_f16 v94, v145, 0xb461, -v106
	v_mul_f16_sdwa v113, v46, v41 dst_sel:DWORD dst_unused:UNUSED_PAD src0_sel:WORD_1 src1_sel:DWORD
	v_mul_f16_e32 v121, 0xba62, v46
	v_add_f16_sdwa v97, v97, v0 dst_sel:DWORD dst_unused:UNUSED_PAD src0_sel:DWORD src1_sel:WORD_1
	v_fma_f16 v101, v119, 0xbbdd, -v96
	v_add_f16_e32 v104, v99, v92
	v_add_f16_sdwa v92, v94, v0 dst_sel:DWORD dst_unused:UNUSED_PAD src0_sel:DWORD src1_sel:WORD_1
	v_mul_f16_e32 v108, 0x3836, v65
	v_fmamk_f16 v94, v47, 0xb8d2, v113
	v_mul_f16_sdwa v115, v65, v71 dst_sel:DWORD dst_unused:UNUSED_PAD src0_sel:WORD_1 src1_sel:DWORD
	v_fma_f16 v71, v145, 0xb8d2, -v121
	v_mul_f16_e32 v125, 0x3bb2, v65
	v_add_f16_e32 v97, v101, v97
	v_fma_f16 v99, v119, 0xbacd, -v108
	v_add_f16_e32 v94, v94, v0
	v_fmamk_f16 v101, v50, 0xb461, v115
	v_add_f16_sdwa v71, v71, v0 dst_sel:DWORD dst_unused:UNUSED_PAD src0_sel:DWORD src1_sel:WORD_1
	v_fma_f16 v102, v119, 0xb461, -v125
	v_mul_f16_sdwa v134, v46, v100 dst_sel:DWORD dst_unused:UNUSED_PAD src0_sel:WORD_1 src1_sel:DWORD
	v_pk_mul_f16 v138, 0xb1e1b836, v46
	v_add_f16_e32 v105, v99, v92
	v_add_f16_e32 v94, v101, v94
	;; [unrolled: 1-line block ×3, first 2 shown]
	v_fmamk_f16 v71, v47, 0xbacd, v134
	v_mul_f16_sdwa v135, v65, v21 dst_sel:DWORD dst_unused:UNUSED_PAD src0_sel:WORD_1 src1_sel:DWORD
	v_pk_fma_f16 v92, 0xbacdbbdd, v47, v138 op_sel:[0,0,1] op_sel_hi:[1,1,0] neg_lo:[0,0,1] neg_hi:[0,0,1]
	v_pk_mul_f16 v136, 0x35c83b29, v65
	v_mul_f16_e32 v46, 0xb1e1, v46
	v_add_f16_e32 v71, v71, v0
	v_fmamk_f16 v99, v50, 0x3722, v135
	v_pk_add_f16 v92, v92, v0
	v_pk_fma_f16 v102, 0x37223b76, v50, v136 op_sel:[0,0,1] op_sel_hi:[1,1,0] neg_lo:[0,0,1] neg_hi:[0,0,1]
	v_fma_f16 v107, v145, 0xbbdd, -v46
	v_mul_f16_e32 v117, 0x35c8, v65
	v_mul_f16_sdwa v65, v58, v54 dst_sel:DWORD dst_unused:UNUSED_PAD src0_sel:WORD_1 src1_sel:DWORD
	v_add_f16_e32 v54, v99, v71
	v_pk_add_f16 v109, v102, v92
	v_add_f16_sdwa v102, v107, v0 dst_sel:DWORD dst_unused:UNUSED_PAD src0_sel:DWORD src1_sel:WORD_1
	v_fma_f16 v107, v119, 0x3b76, -v117
	v_fmamk_f16 v110, v53, 0x3722, v65
	v_lshrrev_b32_e32 v128, 16, v53
	v_mul_f16_e32 v71, 0xbb29, v58
	v_mul_f16_e32 v114, 0x3964, v58
	v_add_f16_e32 v107, v107, v102
	v_add_f16_e32 v111, v110, v78
	v_mul_f16_e32 v102, 0x3bb2, v58
	v_fma_f16 v78, v128, 0x3722, -v71
	v_mul_f16_e32 v92, 0xba62, v58
	v_mul_f16_e32 v99, 0x31e1, v58
	v_mul_f16_sdwa v126, v58, v42 dst_sel:DWORD dst_unused:UNUSED_PAD src0_sel:WORD_1 src1_sel:DWORD
	v_mul_f16_e32 v131, 0xb5c8, v58
	v_add_f16_e32 v116, v78, v79
	v_fma_f16 v78, v128, 0xb461, -v102
	v_fma_f16 v79, v128, 0x39e9, -v114
	v_mul_f16_sdwa v146, v58, v44 dst_sel:DWORD dst_unused:UNUSED_PAD src0_sel:WORD_1 src1_sel:DWORD
	v_fma_f16 v110, v128, 0xb8d2, -v92
	v_fma_f16 v112, v128, 0xbbdd, -v99
	v_add_f16_e32 v118, v78, v97
	v_add_f16_e32 v105, v79, v105
	v_fmamk_f16 v78, v53, 0x3b76, v126
	v_fma_f16 v79, v128, 0x3b76, -v131
	v_fmamk_f16 v97, v53, 0x2de8, v146
	v_pk_mul_f16 v148, 0xb836bbf7, v58
	v_mul_f16_e32 v58, 0xb836, v58
	v_add_f16_e32 v91, v110, v91
	v_add_f16_e32 v112, v112, v104
	;; [unrolled: 1-line block ×5, first 2 shown]
	v_pk_fma_f16 v104, 0x2de8bacd, v53, v148 op_sel:[0,0,1] op_sel_hi:[1,1,0] neg_lo:[0,0,1] neg_hi:[0,0,1]
	v_fma_f16 v110, v128, 0xbacd, -v58
	v_mul_f16_sdwa v78, v56, v44 dst_sel:DWORD dst_unused:UNUSED_PAD src0_sel:WORD_1 src1_sel:DWORD
	v_lshrrev_b32_e32 v130, 16, v48
	v_mul_f16_e32 v79, 0xbbf7, v56
	v_mul_f16_e32 v97, 0xb1e1, v56
	v_pk_add_f16 v44, v104, v109
	v_add_f16_e32 v107, v110, v107
	v_fmamk_f16 v109, v48, 0x2de8, v78
	v_fma_f16 v122, v130, 0x2de8, -v79
	v_fma_f16 v123, v130, 0xbbdd, -v97
	v_mul_f16_e32 v104, 0x3bb2, v56
	v_mul_f16_e32 v110, 0x35c8, v56
	v_add_f16_e32 v109, v109, v111
	v_add_f16_e32 v116, v122, v116
	;; [unrolled: 1-line block ×3, first 2 shown]
	v_fma_f16 v91, v130, 0xb461, -v104
	v_fma_f16 v111, v130, 0x3b76, -v110
	v_mul_f16_e32 v122, 0xbb29, v56
	v_mul_f16_sdwa v132, v56, v100 dst_sel:DWORD dst_unused:UNUSED_PAD src0_sel:WORD_1 src1_sel:DWORD
	v_mul_f16_e32 v140, 0xb836, v56
	v_add_f16_e32 v124, v91, v112
	v_add_f16_e32 v118, v111, v118
	v_fma_f16 v91, v130, 0x3722, -v122
	v_fmamk_f16 v111, v48, 0xbacd, v132
	v_pk_mul_f16 v154, 0x39643a62, v56
	v_fma_f16 v112, v130, 0xbacd, -v140
	v_mul_f16_sdwa v155, v56, v88 dst_sel:DWORD dst_unused:UNUSED_PAD src0_sel:WORD_1 src1_sel:DWORD
	v_add_f16_e32 v105, v91, v105
	v_add_f16_e32 v94, v111, v94
	v_pk_fma_f16 v111, 0xb8d239e9, v48, v154 op_sel:[0,0,1] op_sel_hi:[1,1,0] neg_lo:[0,0,1] neg_hi:[0,0,1]
	v_mul_f16_e32 v56, 0x3964, v56
	v_lshrrev_b32_e32 v133, 16, v52
	v_mul_f16_e32 v91, 0xbbb2, v45
	v_add_f16_e32 v129, v112, v101
	v_fmamk_f16 v101, v48, 0xb8d2, v155
	v_mul_f16_sdwa v88, v45, v120 dst_sel:DWORD dst_unused:UNUSED_PAD src0_sel:WORD_1 src1_sel:DWORD
	v_pk_add_f16 v44, v111, v44
	v_fma_f16 v112, v130, 0x39e9, -v56
	v_fma_f16 v137, v133, 0xb461, -v91
	v_mul_f16_e32 v111, 0x3964, v45
	v_add_f16_e32 v54, v101, v54
	v_fmamk_f16 v127, v52, 0xb461, v88
	v_mul_f16_e32 v101, 0x3836, v45
	v_add_f16_e32 v139, v112, v107
	v_add_f16_e32 v137, v137, v116
	v_fma_f16 v116, v133, 0x39e9, -v111
	v_mul_f16_e32 v112, 0xbb29, v45
	v_mul_f16_sdwa v144, v45, v93 dst_sel:DWORD dst_unused:UNUSED_PAD src0_sel:WORD_1 src1_sel:DWORD
	v_add_f16_e32 v109, v127, v109
	v_fma_f16 v107, v133, 0xbacd, -v101
	v_mul_f16_e32 v127, 0xb1e1, v45
	v_add_f16_e32 v124, v116, v124
	v_fma_f16 v93, v133, 0x3722, -v112
	v_fmamk_f16 v116, v52, 0x2de8, v144
	v_mul_f16_e32 v150, 0x3bf7, v45
	v_add_f16_e32 v141, v107, v123
	v_fma_f16 v107, v133, 0xbbdd, -v127
	v_mul_f16_sdwa v158, v45, v42 dst_sel:DWORD dst_unused:UNUSED_PAD src0_sel:WORD_1 src1_sel:DWORD
	v_add_f16_e32 v42, v93, v118
	v_add_f16_e32 v118, v116, v94
	v_fma_f16 v94, v133, 0x2de8, -v150
	v_pk_mul_f16 v159, 0xba62b5c8, v45
	v_mul_f16_sdwa v93, v98, v41 dst_sel:DWORD dst_unused:UNUSED_PAD src0_sel:WORD_1 src1_sel:DWORD
	v_add_f16_e32 v105, v107, v105
	v_fmamk_f16 v107, v52, 0x3b76, v158
	v_mul_f16_e32 v45, 0xba62, v45
	v_add_f16_e32 v41, v94, v129
	v_pk_fma_f16 v116, 0x3b76b8d2, v52, v159 op_sel:[0,0,1] op_sel_hi:[1,1,0] neg_lo:[0,0,1] neg_hi:[0,0,1]
	v_fmamk_f16 v129, v63, 0xb8d2, v93
	v_lshrrev_b32_e32 v142, 16, v63
	v_mul_f16_e32 v94, 0xba62, v98
	v_add_f16_e32 v54, v107, v54
	v_fma_f16 v123, v133, 0xb8d2, -v45
	v_mul_f16_e32 v107, 0x3bb2, v98
	v_pk_add_f16 v44, v116, v44
	v_add_f16_e32 v149, v129, v109
	v_fma_f16 v109, v142, 0xb8d2, -v94
	v_mul_f16_e32 v116, 0xb5c8, v98
	v_add_f16_e32 v143, v123, v139
	v_mul_f16_e32 v123, 0xb836, v98
	v_fma_f16 v129, v142, 0xb461, -v107
	v_add_f16_e32 v137, v109, v137
	v_fma_f16 v109, v142, 0x3b76, -v116
	v_mul_f16_sdwa v152, v98, v39 dst_sel:DWORD dst_unused:UNUSED_PAD src0_sel:WORD_1 src1_sel:DWORD
	v_mul_f16_e32 v139, 0x3bf7, v98
	v_fma_f16 v147, v142, 0xbacd, -v123
	v_add_f16_e32 v39, v129, v141
	v_add_f16_e32 v141, v109, v124
	v_fmamk_f16 v109, v63, 0x39e9, v152
	v_mul_f16_e32 v156, 0xb964, v98
	v_mul_f16_sdwa v162, v98, v40 dst_sel:DWORD dst_unused:UNUSED_PAD src0_sel:WORD_1 src1_sel:DWORD
	v_pk_mul_f16 v163, 0x3b29b1e1, v98
	v_mul_f16_e32 v164, 0x3b29, v98
	v_fma_f16 v151, v142, 0x2de8, -v139
	v_add_f16_e32 v42, v147, v42
	v_add_f16_e32 v118, v109, v118
	v_fma_f16 v109, v142, 0x39e9, -v156
	v_fmamk_f16 v124, v63, 0xbbdd, v162
	v_pk_fma_f16 v129, 0xbbdd3722, v63, v163 op_sel:[0,0,1] op_sel_hi:[1,1,0] neg_lo:[0,0,1] neg_hi:[0,0,1]
	v_fma_f16 v147, v142, 0x3722, -v164
	v_mul_f16_sdwa v98, v103, v100 dst_sel:DWORD dst_unused:UNUSED_PAD src0_sel:WORD_1 src1_sel:DWORD
	v_add_f16_e32 v105, v151, v105
	v_add_f16_e32 v41, v109, v41
	v_add_f16_e32 v54, v124, v54
	v_pk_add_f16 v44, v129, v44
	v_add_f16_e32 v143, v147, v143
	v_fmamk_f16 v151, v64, 0xbacd, v98
	v_lshrrev_b32_e32 v147, 16, v64
	v_mul_f16_e32 v109, 0x3b29, v103
	v_mul_f16_e32 v124, 0xbbf7, v103
	;; [unrolled: 1-line block ×4, first 2 shown]
	v_add_f16_e32 v151, v151, v149
	v_fma_f16 v157, v147, 0x3722, -v109
	v_fma_f16 v160, v147, 0x2de8, -v124
	;; [unrolled: 1-line block ×3, first 2 shown]
	v_mul_f16_e32 v149, 0xb5c8, v103
	v_fma_f16 v153, v147, 0xbacd, -v100
	v_add_f16_e32 v39, v157, v39
	v_add_f16_e32 v141, v160, v141
	v_add_f16_e32 v168, v161, v42
	v_fma_f16 v42, v147, 0x3b76, -v149
	v_mul_f16_sdwa v157, v103, v40 dst_sel:DWORD dst_unused:UNUSED_PAD src0_sel:WORD_1 src1_sel:DWORD
	v_mul_f16_e32 v160, 0xb1e1, v103
	v_mul_f16_sdwa v165, v103, v43 dst_sel:DWORD dst_unused:UNUSED_PAD src0_sel:WORD_1 src1_sel:DWORD
	v_pk_mul_f16 v166, 0xbbb23964, v103
	v_add_f16_e32 v137, v153, v137
	v_add_f16_e32 v175, v42, v105
	v_fmamk_f16 v42, v64, 0xbbdd, v157
	v_fma_f16 v43, v147, 0xbbdd, -v160
	v_fmamk_f16 v105, v64, 0x39e9, v165
	v_pk_fma_f16 v153, 0x39e9b461, v64, v166 op_sel:[0,0,1] op_sel_hi:[1,1,0] neg_lo:[0,0,1] neg_hi:[0,0,1]
	v_mul_f16_e32 v176, 0xbbb2, v103
	v_add_f16_e32 v177, v42, v118
	v_add_f16_e32 v118, v43, v41
	;; [unrolled: 1-line block ×3, first 2 shown]
	v_pk_add_f16 v178, v153, v44
	v_fma_f16 v41, v147, 0xb461, -v176
	v_mul_f16_sdwa v103, v57, v40 dst_sel:DWORD dst_unused:UNUSED_PAD src0_sel:WORD_1 src1_sel:DWORD
	v_lshrrev_b32_e32 v153, 16, v77
	v_mul_f16_e32 v105, 0xb1e1, v57
	v_pk_fma_f16 v40, 0xbacdbbdd, v47, v138 op_sel:[0,0,1] op_sel_hi:[1,1,0]
	v_mul_f16_e32 v42, 0x3b76, v119
	v_add_f16_e32 v143, v41, v143
	v_fmamk_f16 v41, v77, 0xbbdd, v103
	v_fma_f16 v43, v153, 0xbbdd, -v105
	v_pack_b32_f16 v44, v117, v40
	v_perm_b32 v42, v0, v42, 0x5040100
	v_fmamk_f16 v46, v145, 0xbbdd, v46
	v_pk_mul_f16 v169, 0x37223b76, v50
	v_mul_f16_e32 v117, 0x35c8, v57
	v_add_f16_e32 v40, v41, v151
	v_add_f16_e32 v41, v43, v137
	v_pk_add_f16 v43, v44, v42
	v_pack_b32_f16 v42, v46, v169
	v_perm_b32 v44, v136, v0, 0x7060302
	v_fma_f16 v46, v153, 0x3b76, -v117
	v_pk_mul_f16 v171, 0x2de8bacd, v53
	v_mul_f16_e32 v151, 0xbacd, v128
	v_mul_f16_e32 v137, 0xb836, v57
	v_pk_add_f16 v44, v42, v44
	v_add_f16_e32 v42, v46, v39
	v_pack_b32_f16 v39, v58, v171
	v_bfi_b32 v46, 0xffff, v151, v148
	v_pk_mul_f16 v170, 0xb8d239e9, v48
	v_mul_f16_e32 v151, 0x39e9, v130
	v_fma_f16 v58, v153, 0xbacd, -v137
	v_pk_add_f16 v44, v44, v43
	v_pk_add_f16 v39, v39, v46
	v_pack_b32_f16 v46, v56, v170
	v_bfi_b32 v56, 0xffff, v151, v154
	v_add_f16_e32 v43, v58, v141
	v_pk_mul_f16 v173, 0x3b76b8d2, v52
	v_mul_f16_e32 v58, 0xb8d2, v133
	v_pk_add_f16 v39, v39, v44
	v_pk_add_f16 v44, v46, v56
	v_mul_f16_e32 v151, 0x3964, v57
	v_pack_b32_f16 v45, v45, v173
	v_bfi_b32 v46, 0xffff, v58, v159
	v_pk_mul_f16 v174, 0xbbdd3722, v63
	v_pk_add_f16 v39, v44, v39
	v_mul_f16_e32 v44, 0x3722, v142
	v_fma_f16 v56, v153, 0x39e9, -v151
	v_pk_add_f16 v45, v45, v46
	v_mul_f16_e32 v161, 0xba62, v57
	v_pack_b32_f16 v46, v164, v174
	v_mul_f16_e32 v167, 0x3b29, v57
	v_bfi_b32 v58, 0xffff, v44, v163
	v_add_f16_e32 v44, v56, v168
	v_fma_f16 v56, v153, 0xb8d2, -v161
	v_pk_add_f16 v39, v45, v39
	v_fma_f16 v141, v153, 0x3722, -v167
	v_pk_add_f16 v58, v46, v58
	v_pk_mul_f16 v172, 0x39e9b461, v64
	v_mul_f16_e32 v164, 0xb461, v147
	v_add_f16_e32 v45, v56, v175
	v_add_f16_e32 v46, v141, v118
	v_pk_add_f16 v39, v58, v39
	v_pack_b32_f16 v56, v176, v172
	v_bfi_b32 v58, 0xffff, v164, v166
	v_pk_mul_f16 v164, 0x3bf7bbb2, v57
	v_mul_f16_e32 v141, 0x3bf7, v57
	v_mul_f16_e32 v168, 0x2de8, v153
	v_pk_mul_f16 v118, 0xb4612de8, v77
	s_load_dwordx2 s[2:3], s[4:5], 0x8
	v_mul_f16_sdwa v120, v57, v120 dst_sel:DWORD dst_unused:UNUSED_PAD src0_sel:WORD_1 src1_sel:DWORD
	v_pk_add_f16 v56, v56, v58
	v_bfi_b32 v58, 0xffff, v168, v164
	v_pack_b32_f16 v175, v141, v118
	v_mul_f16_sdwa v168, v57, v21 dst_sel:DWORD dst_unused:UNUSED_PAD src0_sel:WORD_1 src1_sel:DWORD
	v_fmamk_f16 v176, v77, 0xb461, v120
	v_pk_add_f16 v21, v56, v39
	v_pk_fma_f16 v39, 0xb4612de8, v77, v164 op_sel:[0,0,1] op_sel_hi:[1,1,0] neg_lo:[0,0,1] neg_hi:[0,0,1]
	v_pk_add_f16 v56, v175, v58
	v_fma_f16 v141, v153, 0x2de8, -v141
	v_fmamk_f16 v175, v77, 0x3722, v168
	v_add_f16_e32 v54, v176, v54
	v_pk_add_f16 v58, v39, v178
	v_pk_add_f16 v57, v56, v21
	v_add_f16_e32 v56, v141, v143
	v_add_f16_e32 v21, v175, v177
	v_mul_lo_u16 v39, v38, 17
	s_waitcnt lgkmcnt(0)
	s_barrier
	buffer_gl0_inv
	s_and_saveexec_b32 s4, vcc_lo
	s_cbranch_execz .LBB0_7
; %bb.6:
	v_pk_mul_f16 v184, 0xbacdbbdd, v47
	v_mul_f16_e32 v141, 0x3b76, v47
	v_mul_f16_e32 v175, 0x39e9, v47
	;; [unrolled: 1-line block ×7, first 2 shown]
	v_bfi_b32 v134, 0xffff, v134, v184
	v_alignbit_b32 v138, v138, v138, 16
	v_bfi_b32 v135, 0xffff, v135, v169
	v_alignbit_b32 v136, v136, v136, 16
	v_alignbit_b32 v148, v148, v148, 16
	v_pk_add_f16 v47, v47, v134 neg_lo:[0,1] neg_hi:[0,1]
	v_pk_add_f16 v134, v138, v184
	v_mul_f16_e32 v138, 0x3722, v50
	v_pk_add_f16 v136, v136, v169
	v_pk_add_f16 v148, v148, v171
	v_mul_f16_e32 v143, 0x3b76, v145
	v_bfi_b32 v47, 0xffff, v47, v134
	v_mul_f16_e32 v134, 0x2de8, v53
	v_pk_add_f16 v135, v138, v135 neg_lo:[0,1] neg_hi:[0,1]
	v_bfi_b32 v138, 0xffff, v146, v171
	v_mul_f16_e32 v176, 0x39e9, v145
	v_mul_f16_e32 v178, 0x3722, v145
	;; [unrolled: 1-line block ×4, first 2 shown]
	v_pk_add_f16 v134, v134, v138 neg_lo:[0,1] neg_hi:[0,1]
	v_mul_f16_e32 v145, 0xb8d2, v145
	v_mul_f16_e32 v171, 0xb8d2, v48
	v_bfi_b32 v135, 0xffff, v135, v136
	v_bfi_b32 v136, 0xffff, v155, v170
	;; [unrolled: 1-line block ×3, first 2 shown]
	v_mul_f16_e32 v148, 0x3b76, v52
	v_alignbit_b32 v154, v154, v154, 16
	v_bfi_b32 v158, 0xffff, v158, v173
	v_alignbit_b32 v159, v159, v159, 16
	v_mul_f16_e32 v186, 0x39e9, v119
	v_mul_f16_e32 v188, 0x2de8, v119
	;; [unrolled: 1-line block ×6, first 2 shown]
	v_pk_add_f16 v136, v171, v136 neg_lo:[0,1] neg_hi:[0,1]
	v_pk_add_f16 v154, v154, v170
	v_pk_add_f16 v148, v148, v158 neg_lo:[0,1] neg_hi:[0,1]
	v_pk_add_f16 v159, v159, v173
	v_alignbit_b32 v163, v163, v163, 16
	v_add_f16_e32 v121, v121, v145
	v_mul_f16_e32 v171, 0x3722, v128
	v_mul_f16_e32 v158, 0xb8d2, v128
	v_bfi_b32 v136, 0xffff, v136, v154
	v_bfi_b32 v154, 0xffff, v162, v174
	v_bfi_b32 v148, 0xffff, v148, v159
	v_mul_f16_e32 v159, 0xbbdd, v128
	v_pk_add_f16 v163, v163, v174
	v_mul_f16_e32 v174, 0xb461, v128
	v_add_f16_e32 v119, v125, v119
	v_mul_f16_e32 v125, 0x39e9, v128
	v_add_f16_sdwa v121, v121, v0 dst_sel:DWORD dst_unused:UNUSED_PAD src0_sel:DWORD src1_sel:WORD_1
	v_mul_f16_e32 v128, 0x3b76, v128
	v_alignbit_b32 v166, v166, v166, 16
	v_mul_f16_e32 v173, 0xbbdd, v63
	v_bfi_b32 v165, 0xffff, v165, v172
	v_add_f16_e32 v119, v119, v121
	v_add_f16_e32 v128, v131, v128
	v_pk_add_f16 v166, v166, v172
	v_mul_f16_e32 v172, 0xbacd, v130
	v_mul_f16_e32 v185, 0x39e9, v50
	v_mul_f16_e32 v187, 0x2de8, v50
	v_mul_f16_e32 v189, 0xb8d2, v50
	v_mul_f16_e32 v184, 0xbbdd, v50
	v_mul_f16_e32 v169, 0xbacd, v50
	v_mul_f16_e32 v50, 0xb461, v50
	v_mul_f16_e32 v155, 0x3722, v53
	v_mul_f16_e32 v170, 0xb8d2, v53
	v_mul_f16_e32 v162, 0xbbdd, v53
	v_pk_add_f16 v154, v173, v154 neg_lo:[0,1] neg_hi:[0,1]
	v_mul_f16_e32 v173, 0xb461, v53
	v_mul_f16_e32 v145, 0x39e9, v53
	;; [unrolled: 1-line block ×3, first 2 shown]
	v_add_f16_e32 v119, v128, v119
	v_sub_f16_e32 v113, v183, v113
	v_add_f16_e32 v140, v140, v172
	v_mul_f16_e32 v172, 0x2de8, v133
	v_bfi_b32 v154, 0xffff, v154, v163
	v_mul_f16_e32 v163, 0x39e9, v64
	v_sub_f16_e32 v50, v50, v115
	v_add_f16_e32 v113, v113, v0
	v_add_f16_e32 v119, v140, v119
	;; [unrolled: 1-line block ×3, first 2 shown]
	v_sub_f16_e32 v53, v53, v126
	v_mul_f16_e32 v126, 0x39e9, v142
	v_mul_f16_e32 v121, 0x2de8, v48
	v_pk_add_f16 v163, v163, v165 neg_lo:[0,1] neg_hi:[0,1]
	v_mul_f16_e32 v165, 0xbbdd, v48
	v_mul_f16_e32 v183, 0xb461, v48
	;; [unrolled: 1-line block ×3, first 2 shown]
	v_add_f16_e32 v50, v50, v113
	v_mul_f16_e32 v113, 0x3722, v48
	v_mul_f16_e32 v48, 0xbacd, v48
	v_add_f16_e32 v119, v150, v119
	v_add_f16_e32 v126, v156, v126
	v_sub_f16_e32 v67, v179, v67
	v_add_f16_e32 v50, v53, v50
	v_mul_f16_e32 v53, 0xbbdd, v147
	v_sub_f16_e32 v48, v48, v132
	v_add_f16_e32 v119, v126, v119
	v_mul_f16_e32 v126, 0x2de8, v52
	v_add_f16_e32 v106, v106, v182
	v_add_f16_e32 v67, v67, v0
	v_sub_f16_e32 v68, v184, v68
	v_add_f16_e32 v53, v160, v53
	v_add_f16_e32 v48, v48, v50
	v_sub_f16_e32 v126, v126, v144
	v_add_f16_e32 v108, v108, v138
	v_add_f16_sdwa v106, v106, v0 dst_sel:DWORD dst_unused:UNUSED_PAD src0_sel:DWORD src1_sel:WORD_1
	v_add_f16_e32 v67, v68, v67
	v_sub_f16_e32 v68, v173, v70
	v_mul_f16_e32 v131, 0x2de8, v130
	v_mul_f16_e32 v128, 0xbbdd, v130
	;; [unrolled: 1-line block ×6, first 2 shown]
	v_add_f16_e32 v53, v53, v119
	v_mul_f16_e32 v119, 0x39e9, v63
	v_add_f16_e32 v48, v126, v48
	v_mul_f16_e32 v126, 0x3722, v52
	v_add_f16_e32 v106, v108, v106
	v_add_f16_e32 v114, v114, v125
	v_sub_f16_e32 v81, v181, v81
	v_add_f16_e32 v67, v68, v67
	v_sub_f16_e32 v66, v140, v66
	v_mul_f16_e32 v156, 0xb461, v133
	v_mul_f16_e32 v160, 0xbacd, v133
	v_add_f16_e32 v50, v167, v50
	v_mul_f16_e32 v167, 0x39e9, v133
	v_sub_f16_e32 v119, v119, v152
	v_mul_f16_e32 v152, 0x3722, v133
	v_mul_f16_e32 v133, 0xbbdd, v133
	;; [unrolled: 1-line block ×3, first 2 shown]
	v_add_f16_e32 v106, v114, v106
	v_add_f16_e32 v122, v122, v130
	v_sub_f16_e32 v82, v169, v82
	v_add_f16_e32 v81, v81, v0
	v_add_f16_e32 v66, v66, v67
	v_sub_f16_e32 v67, v126, v69
	v_mul_f16_e32 v114, 0xbacd, v147
	v_mul_f16_e32 v130, 0x3722, v147
	v_add_f16_e32 v106, v122, v106
	v_mul_f16_e32 v122, 0x2de8, v147
	v_add_f16_e32 v127, v127, v133
	;; [unrolled: 2-line block ×3, first 2 shown]
	v_mul_f16_e32 v82, 0xb8d2, v147
	v_mul_f16_e32 v147, 0x3b76, v147
	v_add_f16_e32 v66, v67, v66
	v_sub_f16_e32 v67, v108, v72
	v_sub_f16_e32 v26, v177, v26
	;; [unrolled: 1-line block ×3, first 2 shown]
	v_add_f16_e32 v147, v149, v147
	v_mul_f16_e32 v149, 0x39e9, v77
	v_add_f16_e32 v66, v67, v66
	v_sub_f16_e32 v67, v133, v74
	v_add_f16_e32 v26, v26, v0
	v_pk_add_f16 v1, v1, v0
	v_add_f16_e32 v50, v50, v53
	v_mul_f16_e32 v53, 0xbbdd, v64
	v_add_f16_e32 v66, v67, v66
	v_sub_f16_e32 v67, v149, v73
	v_add_f16_e32 v26, v27, v26
	v_sub_f16_e32 v27, v162, v29
	v_sub_f16_e32 v20, v175, v20
	;; [unrolled: 1-line block ×3, first 2 shown]
	v_add_f16_e32 v66, v67, v66
	v_add_f16_e32 v67, v75, v176
	v_pk_add_f16 v1, v22, v1
	v_mul_f16_e32 v144, 0x39e9, v52
	v_add_f16_e32 v48, v119, v48
	v_sub_f16_e32 v53, v53, v157
	v_add_f16_sdwa v29, v67, v0 dst_sel:DWORD dst_unused:UNUSED_PAD src0_sel:DWORD src1_sel:WORD_1
	v_add_f16_e32 v67, v76, v188
	v_add_f16_e32 v26, v27, v26
	v_sub_f16_e32 v27, v183, v31
	v_add_f16_e32 v31, v92, v158
	v_add_f16_e32 v20, v20, v0
	;; [unrolled: 1-line block ×3, first 2 shown]
	v_sub_f16_e32 v24, v187, v24
	v_mul_f16_e32 v150, 0xb461, v52
	v_mul_f16_e32 v132, 0xbacd, v52
	;; [unrolled: 1-line block ×4, first 2 shown]
	v_add_f16_e32 v81, v83, v81
	v_sub_f16_e32 v85, v113, v85
	v_pk_add_f16 v1, v23, v1
	v_add_f16_e32 v48, v53, v48
	v_mul_f16_e32 v53, 0x3b76, v63
	v_add_f16_e32 v26, v27, v26
	v_sub_f16_e32 v27, v144, v34
	v_add_f16_e32 v29, v31, v29
	v_add_f16_e32 v31, v97, v128
	;; [unrolled: 1-line block ×3, first 2 shown]
	v_sub_f16_e32 v24, v170, v25
	v_bfi_b32 v163, 0xffff, v163, v166
	v_mul_f16_e32 v166, 0xb8d2, v63
	v_mul_f16_e32 v182, 0xb461, v63
	v_sub_f16_e32 v157, v157, v168
	v_mul_f16_e32 v63, 0x2de8, v63
	v_add_f16_e32 v81, v85, v81
	v_sub_f16_e32 v52, v52, v86
	v_pk_add_f16 v1, v10, v1
	v_mul_f16_e32 v138, 0xb461, v142
	v_mul_f16_e32 v169, 0x2de8, v64
	v_add_f16_e32 v26, v27, v26
	v_sub_f16_e32 v27, v53, v35
	v_add_f16_e32 v29, v31, v29
	v_add_f16_e32 v31, v101, v160
	;; [unrolled: 1-line block ×3, first 2 shown]
	v_sub_f16_e32 v24, v165, v30
	v_add_f16_e32 v48, v157, v48
	v_mul_f16_e32 v157, 0xbacd, v64
	v_mul_f16_e32 v181, 0x3722, v64
	;; [unrolled: 1-line block ×3, first 2 shown]
	v_add_f16_e32 v52, v52, v81
	v_sub_f16_e32 v63, v63, v84
	v_pk_add_f16 v1, v11, v1
	v_mul_f16_e32 v113, 0xbacd, v77
	v_add_f16_e32 v25, v27, v26
	v_sub_f16_e32 v26, v169, v51
	v_add_f16_e32 v27, v31, v29
	v_add_f16_e32 v29, v107, v138
	;; [unrolled: 1-line block ×3, first 2 shown]
	v_sub_f16_e32 v22, v132, v28
	v_mul_f16_e32 v86, 0xb8d2, v77
	v_add_f16_e32 v52, v63, v52
	v_sub_f16_e32 v63, v64, v80
	v_pk_add_f16 v1, v12, v1
	v_mul_f16_e32 v83, 0x3b76, v153
	v_add_f16_e32 v25, v26, v25
	v_add_f16_e32 v26, v29, v27
	;; [unrolled: 1-line block ×3, first 2 shown]
	v_sub_f16_e32 v24, v113, v55
	v_add_f16_e32 v20, v22, v20
	v_sub_f16_e32 v22, v182, v32
	v_add_f16_e32 v52, v63, v52
	v_sub_f16_e32 v63, v86, v87
	v_pk_add_f16 v1, v13, v1
	v_add_f16_e32 v26, v27, v26
	v_add_f16_e32 v27, v117, v83
	;; [unrolled: 1-line block ×5, first 2 shown]
	v_sub_f16_e32 v22, v141, v59
	v_add_f16_e32 v52, v63, v52
	v_add_f16_e32 v63, v89, v178
	;; [unrolled: 1-line block ×3, first 2 shown]
	v_pk_add_f16 v1, v8, v1
	v_add_f16_e32 v10, v27, v26
	v_add_f16_sdwa v24, v24, v0 dst_sel:DWORD dst_unused:UNUSED_PAD src0_sel:DWORD src1_sel:WORD_1
	v_add_f16_e32 v11, v62, v186
	v_add_f16_e32 v22, v22, v0
	v_sub_f16_e32 v26, v185, v60
	v_add_f16_sdwa v63, v63, v0 dst_sel:DWORD dst_unused:UNUSED_PAD src0_sel:DWORD src1_sel:WORD_1
	v_add_f16_e32 v68, v90, v190
	v_add_f16_sdwa v81, v95, v0 dst_sel:DWORD dst_unused:UNUSED_PAD src0_sel:DWORD src1_sel:WORD_1
	v_add_f16_e32 v84, v96, v146
	v_pk_add_f16 v1, v9, v1
	v_add_f16_e32 v11, v11, v24
	v_add_f16_e32 v12, v71, v171
	v_add_f16_e32 v22, v26, v22
	v_sub_f16_e32 v13, v155, v65
	v_add_f16_e32 v63, v68, v63
	v_add_f16_e32 v68, v99, v159
	;; [unrolled: 1-line block ×4, first 2 shown]
	v_pk_add_f16 v1, v6, v1
	v_pk_add_f16 v0, v47, v0
	v_add_f16_e32 v11, v12, v11
	v_add_f16_e32 v12, v79, v131
	;; [unrolled: 1-line block ×3, first 2 shown]
	v_sub_f16_e32 v13, v121, v78
	v_add_f16_e32 v63, v68, v63
	v_add_f16_e32 v68, v104, v115
	;; [unrolled: 1-line block ×4, first 2 shown]
	v_pk_add_f16 v1, v7, v1
	v_pk_add_f16 v0, v135, v0
	v_mul_f16_e32 v119, 0xb8d2, v142
	v_add_f16_e32 v11, v12, v11
	v_add_f16_e32 v12, v91, v156
	;; [unrolled: 1-line block ×3, first 2 shown]
	v_sub_f16_e32 v13, v150, v88
	v_mul_f16_e32 v168, 0x3b76, v142
	v_mul_f16_e32 v125, 0xbacd, v142
	;; [unrolled: 1-line block ×3, first 2 shown]
	v_add_f16_e32 v63, v68, v63
	v_add_f16_e32 v68, v111, v167
	;; [unrolled: 1-line block ×4, first 2 shown]
	v_pk_add_f16 v1, v4, v1
	v_pk_add_f16 v0, v134, v0
	v_add_f16_e32 v11, v12, v11
	v_add_f16_e32 v6, v94, v119
	;; [unrolled: 1-line block ×3, first 2 shown]
	v_sub_f16_e32 v12, v166, v93
	v_add_f16_e32 v106, v127, v106
	v_add_f16_e32 v139, v139, v142
	;; [unrolled: 1-line block ×6, first 2 shown]
	v_pk_add_f16 v1, v5, v1
	v_pk_add_f16 v0, v136, v0
	v_mul_f16_e32 v145, 0xbbdd, v77
	v_mul_f16_e32 v127, 0xbbdd, v153
	v_add_f16_e32 v6, v6, v11
	v_add_f16_e32 v7, v100, v114
	;; [unrolled: 1-line block ×3, first 2 shown]
	v_sub_f16_e32 v4, v157, v98
	v_mul_f16_e32 v142, 0x3b76, v77
	v_add_f16_e32 v106, v139, v106
	v_mul_f16_e32 v139, 0xbacd, v153
	v_add_f16_e32 v63, v68, v63
	v_add_f16_e32 v68, v124, v122
	v_sub_f16_e32 v25, v181, v33
	v_mul_f16_e32 v85, 0x39e9, v153
	v_mul_f16_e32 v153, 0xb8d2, v153
	v_add_f16_e32 v64, v70, v64
	v_add_f16_e32 v69, v129, v82
	v_mul_f16_e32 v77, 0xb461, v77
	v_alignbit_b32 v164, v164, v164, 16
	v_pk_add_f16 v1, v2, v1
	v_pk_add_f16 v0, v148, v0
	v_bfi_b32 v2, 0xffff, v120, v118
	v_add_f16_e32 v6, v7, v6
	v_add_f16_e32 v7, v105, v127
	;; [unrolled: 1-line block ×3, first 2 shown]
	v_sub_f16_e32 v5, v145, v103
	v_add_f16_e32 v63, v68, v63
	v_add_f16_e32 v68, v137, v139
	;; [unrolled: 1-line block ×3, first 2 shown]
	v_sub_f16_e32 v24, v142, v49
	v_add_f16_e32 v106, v147, v106
	v_add_f16_e32 v147, v161, v153
	;; [unrolled: 1-line block ×4, first 2 shown]
	v_pk_add_f16 v1, v3, v1
	v_pk_add_f16 v0, v154, v0
	v_pk_add_f16 v2, v77, v2 neg_lo:[0,1] neg_hi:[0,1]
	v_pk_add_f16 v3, v164, v118
	v_add_f16_e32 v6, v7, v6
	v_add_f16_e32 v4, v5, v4
	v_mov_b32_e32 v5, 2
	v_add_f16_e32 v63, v68, v63
	v_add_f16_e32 v9, v24, v20
	;; [unrolled: 1-line block ×4, first 2 shown]
	v_pk_add_f16 v0, v163, v0
	v_bfi_b32 v2, 0xffff, v2, v3
	v_lshlrev_b32_sdwa v5, v5, v39 dst_sel:DWORD dst_unused:UNUSED_PAD src0_sel:DWORD src1_sel:WORD_0
	v_pk_add_f16 v1, v14, v1
	v_pack_b32_f16 v4, v4, v6
	v_pack_b32_f16 v3, v23, v63
	;; [unrolled: 1-line block ×5, first 2 shown]
	v_pk_add_f16 v0, v2, v0
	v_pack_b32_f16 v2, v48, v50
	ds_write2_b32 v5, v1, v4 offset1:1
	ds_write2_b32 v5, v6, v3 offset0:2 offset1:3
	ds_write2_b32 v5, v8, v7 offset0:4 offset1:5
	ds_write2_b32 v5, v2, v0 offset0:6 offset1:7
	v_perm_b32 v0, v57, v58, 0x5040100
	v_alignbit_b32 v1, v56, v57, 16
	v_perm_b32 v2, v46, v21, 0x5040100
	v_bfi_b32 v3, 0xffff, v54, v58
	v_perm_b32 v4, v44, v19, 0x5040100
	v_perm_b32 v6, v45, v18, 0x5040100
	;; [unrolled: 1-line block ×5, first 2 shown]
	ds_write2_b32 v5, v0, v1 offset0:8 offset1:9
	ds_write2_b32 v5, v3, v2 offset0:10 offset1:11
	;; [unrolled: 1-line block ×4, first 2 shown]
	ds_write_b32 v5, v9 offset:64
.LBB0_7:
	s_or_b32 exec_lo, exec_lo, s4
	v_and_b32_e32 v0, 0xff, v38
	s_load_dwordx4 s[4:7], s[0:1], 0x0
	s_waitcnt lgkmcnt(0)
	s_barrier
	buffer_gl0_inv
	v_mul_lo_u16 v0, 0xf1, v0
	v_add_nc_u32_e32 v6, 0x500, v37
	v_add_nc_u32_e32 v8, 0xb00, v37
	;; [unrolled: 1-line block ×3, first 2 shown]
	v_mov_b32_e32 v23, 0x88
	v_lshrrev_b16 v20, 12, v0
	v_cmp_gt_u16_e64 s0, 0x88, v38
	v_lshrrev_b32_e32 v27, 16, v57
	v_mul_lo_u16 v0, v20, 17
	v_mul_u32_u24_sdwa v20, v20, v23 dst_sel:DWORD dst_unused:UNUSED_PAD src0_sel:WORD_0 src1_sel:DWORD
	v_sub_nc_u16 v0, v38, v0
	v_and_b32_e32 v22, 0xff, v0
	v_mad_u64_u32 v[4:5], null, v22, 28, s[2:3]
	v_add_lshl_u32 v47, v20, v22, 2
	s_clause 0x1
	global_load_dwordx4 v[0:3], v[4:5], off
	global_load_dwordx3 v[12:14], v[4:5], off offset:16
	ds_read2_b32 v[4:5], v37 offset1:187
	ds_read2_b32 v[6:7], v6 offset0:54 offset1:241
	ds_read2_b32 v[8:9], v8 offset0:44 offset1:231
	;; [unrolled: 1-line block ×3, first 2 shown]
	s_waitcnt vmcnt(0) lgkmcnt(0)
	s_barrier
	buffer_gl0_inv
	v_lshrrev_b32_e32 v25, 16, v6
	v_lshrrev_b32_e32 v24, 16, v5
	;; [unrolled: 1-line block ×8, first 2 shown]
	v_mul_f16_sdwa v20, v24, v0 dst_sel:DWORD dst_unused:UNUSED_PAD src0_sel:DWORD src1_sel:WORD_1
	v_mul_f16_sdwa v22, v5, v0 dst_sel:DWORD dst_unused:UNUSED_PAD src0_sel:DWORD src1_sel:WORD_1
	;; [unrolled: 1-line block ×14, first 2 shown]
	v_fma_f16 v5, v5, v0, -v20
	v_fmac_f16_e32 v22, v24, v0
	v_fma_f16 v6, v6, v1, -v32
	v_fmac_f16_e32 v33, v25, v1
	;; [unrolled: 2-line block ×7, first 2 shown]
	v_sub_f16_e32 v8, v4, v8
	v_sub_f16_e32 v20, v23, v49
	;; [unrolled: 1-line block ×8, first 2 shown]
	v_fma_f16 v4, v4, 2.0, -v8
	v_fma_f16 v23, v23, 2.0, -v20
	;; [unrolled: 1-line block ×8, first 2 shown]
	v_sub_f16_e32 v24, v8, v24
	v_add_f16_e32 v10, v20, v10
	v_sub_f16_e32 v26, v9, v26
	v_add_f16_e32 v11, v25, v11
	v_sub_f16_e32 v6, v4, v6
	v_sub_f16_e32 v33, v23, v28
	v_fma_f16 v8, v8, 2.0, -v24
	v_fma_f16 v34, v20, 2.0, -v10
	v_sub_f16_e32 v7, v5, v7
	v_sub_f16_e32 v20, v22, v29
	v_fma_f16 v9, v9, 2.0, -v26
	v_fma_f16 v25, v25, 2.0, -v11
	v_fmamk_f16 v29, v26, 0x39a8, v24
	v_fmamk_f16 v48, v11, 0x39a8, v10
	v_fma_f16 v4, v4, 2.0, -v6
	v_fma_f16 v23, v23, 2.0, -v33
	;; [unrolled: 1-line block ×4, first 2 shown]
	v_fmamk_f16 v31, v9, 0xb9a8, v8
	v_fmamk_f16 v51, v25, 0xb9a8, v34
	v_sub_f16_e32 v28, v6, v20
	v_add_f16_e32 v52, v33, v7
	v_fmac_f16_e32 v29, 0xb9a8, v11
	v_fmac_f16_e32 v48, 0x39a8, v26
	v_sub_f16_e32 v30, v4, v5
	v_sub_f16_e32 v53, v23, v22
	v_fmac_f16_e32 v31, 0xb9a8, v25
	v_fmac_f16_e32 v51, 0x39a8, v9
	v_fma_f16 v32, v6, 2.0, -v28
	v_fma_f16 v55, v33, 2.0, -v52
	;; [unrolled: 1-line block ×8, first 2 shown]
	v_pack_b32_f16 v5, v28, v52
	v_pack_b32_f16 v6, v29, v48
	;; [unrolled: 1-line block ×8, first 2 shown]
	ds_write2_b32 v47, v5, v6 offset0:102 offset1:119
	ds_write2_b32 v47, v4, v7 offset0:34 offset1:51
	;; [unrolled: 1-line block ×3, first 2 shown]
	ds_write2_b32 v47, v10, v11 offset1:17
	s_waitcnt lgkmcnt(0)
	s_barrier
	buffer_gl0_inv
	s_and_saveexec_b32 s1, s0
	s_cbranch_execz .LBB0_9
; %bb.8:
	v_add_nc_u32_e32 v4, 0x400, v37
	v_add_nc_u32_e32 v5, 0x800, v37
	v_add_nc_u32_e32 v6, 0xc00, v37
	ds_read2_b32 v[24:25], v37 offset1:136
	ds_read2_b32 v[32:33], v4 offset0:16 offset1:152
	v_add_nc_u32_e32 v4, 0x1000, v37
	ds_read2_b32 v[30:31], v5 offset0:32 offset1:168
	ds_read2_b32 v[28:29], v6 offset0:48 offset1:184
	;; [unrolled: 1-line block ×3, first 2 shown]
	ds_read_b32 v54, v37 offset:5440
	s_waitcnt lgkmcnt(5)
	v_lshrrev_b32_e32 v20, 16, v24
	v_lshrrev_b32_e32 v60, 16, v25
	s_waitcnt lgkmcnt(4)
	v_lshrrev_b32_e32 v55, 16, v32
	v_lshrrev_b32_e32 v59, 16, v33
	;; [unrolled: 3-line block ×5, first 2 shown]
	s_waitcnt lgkmcnt(0)
	v_bfi_b32 v58, 0xffff, v26, v54
.LBB0_9:
	s_or_b32 exec_lo, exec_lo, s1
	v_add_nc_u32_e32 v4, 0xffffff78, v38
	v_lshrrev_b32_e32 v61, 16, v58
	v_cndmask_b32_e64 v4, v4, v38, s0
	v_mul_i32_i24_e32 v5, 40, v4
	v_mul_hi_i32_i24_e32 v4, 40, v4
	v_add_co_u32 v22, s1, s2, v5
	v_add_co_ci_u32_e64 v23, s1, s3, v4, s1
	s_clause 0x2
	global_load_dwordx4 v[8:11], v[22:23], off offset:476
	global_load_dwordx4 v[4:7], v[22:23], off offset:492
	global_load_dwordx2 v[22:23], v[22:23], off offset:508
	s_waitcnt vmcnt(2)
	v_mul_f16_sdwa v62, v60, v8 dst_sel:DWORD dst_unused:UNUSED_PAD src0_sel:DWORD src1_sel:WORD_1
	v_mul_f16_sdwa v63, v25, v8 dst_sel:DWORD dst_unused:UNUSED_PAD src0_sel:DWORD src1_sel:WORD_1
	;; [unrolled: 1-line block ×5, first 2 shown]
	s_waitcnt vmcnt(1)
	v_mul_f16_sdwa v70, v51, v4 dst_sel:DWORD dst_unused:UNUSED_PAD src0_sel:DWORD src1_sel:WORD_1
	v_mul_f16_sdwa v71, v31, v4 dst_sel:DWORD dst_unused:UNUSED_PAD src0_sel:DWORD src1_sel:WORD_1
	;; [unrolled: 1-line block ×5, first 2 shown]
	s_waitcnt vmcnt(0)
	v_mul_f16_sdwa v75, v56, v22 dst_sel:DWORD dst_unused:UNUSED_PAD src0_sel:DWORD src1_sel:WORD_1
	v_mul_f16_sdwa v76, v61, v23 dst_sel:DWORD dst_unused:UNUSED_PAD src0_sel:DWORD src1_sel:WORD_1
	;; [unrolled: 1-line block ×3, first 2 shown]
	v_fma_f16 v62, v25, v8, -v62
	v_fmac_f16_e32 v63, v60, v8
	v_mul_f16_sdwa v66, v59, v10 dst_sel:DWORD dst_unused:UNUSED_PAD src0_sel:DWORD src1_sel:WORD_1
	v_mul_f16_sdwa v67, v33, v10 dst_sel:DWORD dst_unused:UNUSED_PAD src0_sel:DWORD src1_sel:WORD_1
	;; [unrolled: 1-line block ×7, first 2 shown]
	v_fma_f16 v32, v32, v9, -v64
	v_fmac_f16_e32 v65, v55, v9
	v_fmac_f16_e32 v69, v53, v11
	v_fma_f16 v53, v31, v4, -v70
	v_fmac_f16_e32 v71, v51, v4
	v_fma_f16 v51, v28, v5, -v72
	v_fma_f16 v28, v29, v6, -v73
	v_fmac_f16_e32 v49, v48, v6
	v_fma_f16 v31, v27, v22, -v75
	v_fma_f16 v48, v54, v23, -v76
	v_fmac_f16_e32 v34, v61, v23
	v_add_f16_e32 v27, v24, v62
	v_add_f16_e32 v29, v20, v63
	v_fma_f16 v33, v33, v10, -v66
	v_fmac_f16_e32 v67, v59, v10
	v_fma_f16 v30, v30, v11, -v68
	v_fmac_f16_e32 v50, v52, v5
	;; [unrolled: 2-line block ×3, first 2 shown]
	v_fmac_f16_e32 v35, v56, v22
	v_sub_f16_e32 v55, v62, v48
	v_sub_f16_e32 v56, v63, v34
	v_add_f16_e32 v27, v27, v32
	v_add_f16_e32 v29, v29, v65
	;; [unrolled: 1-line block ×6, first 2 shown]
	v_sub_f16_e32 v59, v32, v31
	v_sub_f16_e32 v60, v65, v35
	;; [unrolled: 1-line block ×8, first 2 shown]
	v_mul_f16_e32 v32, 0xb853, v56
	v_mul_f16_e32 v65, 0xb853, v55
	;; [unrolled: 1-line block ×9, first 2 shown]
	v_add_f16_e32 v27, v27, v33
	v_add_f16_e32 v29, v29, v67
	v_add_f16_e32 v61, v33, v25
	v_add_f16_e32 v62, v67, v26
	v_add_f16_e32 v66, v30, v28
	v_add_f16_e32 v68, v69, v49
	v_add_f16_e32 v73, v53, v51
	v_add_f16_e32 v74, v71, v50
	v_mul_f16_e32 v55, 0xb482, v55
	v_mul_f16_e32 v83, 0xbb47, v60
	;; [unrolled: 1-line block ×41, first 2 shown]
	v_fma_f16 v33, v52, 0x3abb, -v32
	v_fmamk_f16 v67, v54, 0x3abb, v65
	v_fma_f16 v65, v54, 0x3abb, -v65
	v_fma_f16 v115, v52, 0x36a6, -v77
	v_fmamk_f16 v116, v54, 0x36a6, v78
	v_fmac_f16_e32 v77, 0x36a6, v52
	v_fma_f16 v78, v54, 0x36a6, -v78
	v_fma_f16 v117, v52, 0xb08e, -v79
	v_fmamk_f16 v118, v54, 0xb08e, v80
	v_fmac_f16_e32 v79, 0xb08e, v52
	v_fmamk_f16 v120, v54, 0xb93d, v82
	v_fma_f16 v82, v54, 0xb93d, -v82
	v_fma_f16 v121, v52, 0xbbad, -v56
	v_add_f16_e32 v27, v27, v30
	v_add_f16_e32 v29, v29, v69
	v_fmac_f16_e32 v32, 0x3abb, v52
	v_fma_f16 v80, v54, 0xb08e, -v80
	v_fma_f16 v119, v52, 0xb93d, -v81
	v_fmac_f16_e32 v81, 0xb93d, v52
	v_fmamk_f16 v122, v54, 0xbbad, v55
	v_fmac_f16_e32 v56, 0xbbad, v52
	v_fma_f16 v52, v54, 0xbbad, -v55
	v_fma_f16 v54, v57, 0x36a6, -v83
	v_fmamk_f16 v55, v58, 0x36a6, v84
	v_fmac_f16_e32 v83, 0x36a6, v57
	v_fma_f16 v84, v58, 0x36a6, -v84
	v_fma_f16 v123, v57, 0xb93d, -v85
	;; [unrolled: 4-line block ×20, first 2 shown]
	v_fmamk_f16 v154, v74, 0xb08e, v75
	v_fmac_f16_e32 v76, 0xb08e, v73
	v_fma_f16 v73, v74, 0xb08e, -v75
	v_add_f16_e32 v30, v24, v33
	v_add_f16_e32 v33, v20, v67
	;; [unrolled: 1-line block ×112, first 2 shown]
	s_and_saveexec_b32 s1, s0
	s_cbranch_execz .LBB0_11
; %bb.10:
	v_perm_b32 v34, v48, v24, 0x5040100
	v_perm_b32 v35, v57, v25, 0x5040100
	;; [unrolled: 1-line block ×4, first 2 shown]
	v_add_nc_u32_e32 v61, 0x400, v37
	v_add_nc_u32_e32 v62, 0x800, v37
	ds_write2_b32 v37, v34, v35 offset1:136
	v_perm_b32 v34, v54, v30, 0x5040100
	v_perm_b32 v35, v59, v31, 0x5040100
	;; [unrolled: 1-line block ×4, first 2 shown]
	v_add_nc_u32_e32 v65, 0xc00, v37
	v_perm_b32 v66, v52, v26, 0x5040100
	v_perm_b32 v67, v50, v27, 0x5040100
	v_add_nc_u32_e32 v68, 0x1000, v37
	v_perm_b32 v69, v49, v20, 0x5040100
	ds_write2_b32 v61, v51, v60 offset0:16 offset1:152
	ds_write2_b32 v62, v34, v35 offset0:32 offset1:168
	ds_write2_b32 v65, v63, v64 offset0:48 offset1:184
	ds_write2_b32 v68, v66, v67 offset0:64 offset1:200
	ds_write_b32 v37, v69 offset:5440
.LBB0_11:
	s_or_b32 exec_lo, exec_lo, s1
	s_waitcnt lgkmcnt(0)
	s_barrier
	buffer_gl0_inv
	s_and_saveexec_b32 s8, vcc_lo
	s_cbranch_execz .LBB0_13
; %bb.12:
	s_add_u32 s2, s12, 0x1760
	s_addc_u32 s3, s13, 0
	v_add_co_u32 v60, s1, s2, v37
	global_load_dword v51, v37, s[2:3]
	v_add_co_ci_u32_e64 v61, null, s3, 0, s1
	v_add_co_u32 v34, s1, 0x800, v60
	s_clause 0x2
	global_load_dword v74, v37, s[2:3] offset:352
	global_load_dword v75, v37, s[2:3] offset:704
	;; [unrolled: 1-line block ×3, first 2 shown]
	v_add_co_ci_u32_e64 v35, s1, 0, v61, s1
	v_add_co_u32 v60, s1, 0x1000, v60
	v_add_co_ci_u32_e64 v61, s1, 0, v61, s1
	s_clause 0x9
	global_load_dword v77, v37, s[2:3] offset:1408
	global_load_dword v78, v37, s[2:3] offset:1760
	global_load_dword v79, v[34:35], off offset:64
	global_load_dword v80, v[34:35], off offset:416
	global_load_dword v81, v[34:35], off offset:768
	global_load_dword v82, v[34:35], off offset:1120
	global_load_dword v83, v[34:35], off offset:1472
	global_load_dword v84, v[34:35], off offset:1824
	global_load_dword v85, v[60:61], off offset:128
	global_load_dword v86, v[60:61], off offset:480
	v_or_b32_e32 v34, 0x1600, v37
	s_clause 0x2
	global_load_dword v87, v[60:61], off offset:832
	global_load_dword v88, v[60:61], off offset:1184
	global_load_dword v89, v34, s[2:3]
	ds_read_b32 v34, v37
	v_add_nc_u32_e32 v90, 0x600, v37
	v_add_nc_u32_e32 v91, 0x800, v37
	;; [unrolled: 1-line block ×6, first 2 shown]
	s_waitcnt lgkmcnt(0)
	v_lshrrev_b32_e32 v35, 16, v34
	s_waitcnt vmcnt(16)
	v_mul_f16_sdwa v60, v35, v51 dst_sel:DWORD dst_unused:UNUSED_PAD src0_sel:DWORD src1_sel:WORD_1
	v_mul_f16_sdwa v61, v34, v51 dst_sel:DWORD dst_unused:UNUSED_PAD src0_sel:DWORD src1_sel:WORD_1
	v_fma_f16 v34, v34, v51, -v60
	v_fmac_f16_e32 v61, v35, v51
	v_add_nc_u32_e32 v51, 0x400, v37
	v_pack_b32_f16 v34, v34, v61
	ds_write_b32 v37, v34
	ds_read2_b32 v[34:35], v37 offset0:88 offset1:176
	ds_read2_b32 v[60:61], v51 offset0:8 offset1:96
	;; [unrolled: 1-line block ×8, first 2 shown]
	s_waitcnt lgkmcnt(7)
	v_lshrrev_b32_e32 v96, 16, v34
	s_waitcnt vmcnt(15)
	v_mul_f16_sdwa v97, v34, v74 dst_sel:DWORD dst_unused:UNUSED_PAD src0_sel:DWORD src1_sel:WORD_1
	v_lshrrev_b32_e32 v98, 16, v35
	s_waitcnt vmcnt(14)
	v_mul_f16_sdwa v99, v35, v75 dst_sel:DWORD dst_unused:UNUSED_PAD src0_sel:DWORD src1_sel:WORD_1
	s_waitcnt lgkmcnt(6)
	v_lshrrev_b32_e32 v100, 16, v60
	s_waitcnt vmcnt(13)
	v_mul_f16_sdwa v101, v60, v76 dst_sel:DWORD dst_unused:UNUSED_PAD src0_sel:DWORD src1_sel:WORD_1
	v_lshrrev_b32_e32 v102, 16, v61
	s_waitcnt vmcnt(12)
	v_mul_f16_sdwa v103, v61, v77 dst_sel:DWORD dst_unused:UNUSED_PAD src0_sel:DWORD src1_sel:WORD_1
	;; [unrolled: 7-line block ×7, first 2 shown]
	s_waitcnt lgkmcnt(0)
	v_lshrrev_b32_e32 v124, 16, v72
	s_waitcnt vmcnt(1)
	v_mul_f16_sdwa v125, v72, v88 dst_sel:DWORD dst_unused:UNUSED_PAD src0_sel:DWORD src1_sel:WORD_1
	v_lshrrev_b32_e32 v126, 16, v73
	v_mul_f16_sdwa v128, v96, v74 dst_sel:DWORD dst_unused:UNUSED_PAD src0_sel:DWORD src1_sel:WORD_1
	v_fmac_f16_e32 v97, v96, v74
	v_mul_f16_sdwa v96, v98, v75 dst_sel:DWORD dst_unused:UNUSED_PAD src0_sel:DWORD src1_sel:WORD_1
	v_fmac_f16_e32 v99, v98, v75
	v_mul_f16_sdwa v98, v100, v76 dst_sel:DWORD dst_unused:UNUSED_PAD src0_sel:DWORD src1_sel:WORD_1
	v_fmac_f16_e32 v101, v100, v76
	v_mul_f16_sdwa v100, v102, v77 dst_sel:DWORD dst_unused:UNUSED_PAD src0_sel:DWORD src1_sel:WORD_1
	v_fmac_f16_e32 v103, v102, v77
	v_mul_f16_sdwa v102, v104, v78 dst_sel:DWORD dst_unused:UNUSED_PAD src0_sel:DWORD src1_sel:WORD_1
	v_fmac_f16_e32 v105, v104, v78
	v_mul_f16_sdwa v104, v106, v79 dst_sel:DWORD dst_unused:UNUSED_PAD src0_sel:DWORD src1_sel:WORD_1
	v_fmac_f16_e32 v107, v106, v79
	v_mul_f16_sdwa v106, v108, v80 dst_sel:DWORD dst_unused:UNUSED_PAD src0_sel:DWORD src1_sel:WORD_1
	v_fmac_f16_e32 v109, v108, v80
	v_mul_f16_sdwa v108, v110, v81 dst_sel:DWORD dst_unused:UNUSED_PAD src0_sel:DWORD src1_sel:WORD_1
	v_fmac_f16_e32 v111, v110, v81
	v_mul_f16_sdwa v110, v112, v82 dst_sel:DWORD dst_unused:UNUSED_PAD src0_sel:DWORD src1_sel:WORD_1
	v_fmac_f16_e32 v113, v112, v82
	v_mul_f16_sdwa v112, v114, v83 dst_sel:DWORD dst_unused:UNUSED_PAD src0_sel:DWORD src1_sel:WORD_1
	s_waitcnt vmcnt(0)
	v_mul_f16_sdwa v127, v73, v89 dst_sel:DWORD dst_unused:UNUSED_PAD src0_sel:DWORD src1_sel:WORD_1
	v_fmac_f16_e32 v115, v114, v83
	v_mul_f16_sdwa v114, v116, v84 dst_sel:DWORD dst_unused:UNUSED_PAD src0_sel:DWORD src1_sel:WORD_1
	v_fmac_f16_e32 v117, v116, v84
	v_mul_f16_sdwa v116, v118, v85 dst_sel:DWORD dst_unused:UNUSED_PAD src0_sel:DWORD src1_sel:WORD_1
	v_fmac_f16_e32 v119, v118, v85
	v_mul_f16_sdwa v118, v120, v86 dst_sel:DWORD dst_unused:UNUSED_PAD src0_sel:DWORD src1_sel:WORD_1
	v_fmac_f16_e32 v121, v120, v86
	v_mul_f16_sdwa v120, v122, v87 dst_sel:DWORD dst_unused:UNUSED_PAD src0_sel:DWORD src1_sel:WORD_1
	v_fmac_f16_e32 v123, v122, v87
	v_mul_f16_sdwa v122, v124, v88 dst_sel:DWORD dst_unused:UNUSED_PAD src0_sel:DWORD src1_sel:WORD_1
	v_fmac_f16_e32 v125, v124, v88
	v_mul_f16_sdwa v124, v126, v89 dst_sel:DWORD dst_unused:UNUSED_PAD src0_sel:DWORD src1_sel:WORD_1
	v_fma_f16 v34, v34, v74, -v128
	v_fma_f16 v35, v35, v75, -v96
	;; [unrolled: 1-line block ×10, first 2 shown]
	v_fmac_f16_e32 v127, v126, v89
	v_fma_f16 v68, v68, v84, -v114
	v_fma_f16 v69, v69, v85, -v116
	;; [unrolled: 1-line block ×6, first 2 shown]
	v_pack_b32_f16 v34, v34, v97
	v_pack_b32_f16 v35, v35, v99
	;; [unrolled: 1-line block ×16, first 2 shown]
	ds_write2_b32 v37, v34, v35 offset0:88 offset1:176
	ds_write2_b32 v51, v60, v61 offset0:8 offset1:96
	;; [unrolled: 1-line block ×8, first 2 shown]
.LBB0_13:
	s_or_b32 exec_lo, exec_lo, s8
	s_waitcnt lgkmcnt(0)
	s_barrier
	buffer_gl0_inv
	s_and_saveexec_b32 s1, vcc_lo
	s_cbranch_execz .LBB0_15
; %bb.14:
	v_add_nc_u32_e32 v16, 0x200, v37
	v_add_nc_u32_e32 v17, 0x400, v37
	;; [unrolled: 1-line block ×3, first 2 shown]
	ds_read2_b32 v[24:25], v37 offset1:88
	ds_read2_b32 v[28:29], v16 offset0:48 offset1:136
	v_add_nc_u32_e32 v16, 0xa00, v37
	ds_read2_b32 v[30:31], v17 offset0:96 offset1:184
	v_add_nc_u32_e32 v17, 0xc00, v37
	;; [unrolled: 2-line block ×4, first 2 shown]
	ds_read2_b32 v[20:21], v17 offset0:112 offset1:200
	ds_read2_b32 v[18:19], v18 offset0:32 offset1:120
	ds_read2_b32 v[16:17], v16 offset0:80 offset1:168
	ds_read_b32 v40, v37 offset:5632
	s_waitcnt lgkmcnt(8)
	v_lshrrev_b32_e32 v48, 16, v24
	v_lshrrev_b32_e32 v57, 16, v25
	s_waitcnt lgkmcnt(7)
	v_lshrrev_b32_e32 v56, 16, v28
	v_lshrrev_b32_e32 v55, 16, v29
	;; [unrolled: 3-line block ×8, first 2 shown]
	s_waitcnt lgkmcnt(0)
	v_lshrrev_b32_e32 v41, 16, v40
.LBB0_15:
	s_or_b32 exec_lo, exec_lo, s1
	v_sub_f16_e32 v81, v57, v41
	v_add_f16_e32 v87, v41, v57
	v_add_f16_e32 v63, v40, v25
	v_sub_f16_e32 v65, v25, v40
	v_sub_f16_e32 v83, v56, v42
	v_mul_f16_e32 v79, 0xb836, v81
	v_mul_f16_e32 v80, 0xbacd, v87
	;; [unrolled: 1-line block ×3, first 2 shown]
	v_add_f16_e32 v90, v42, v56
	v_mul_f16_e32 v35, 0xbbdd, v87
	v_fma_f16 v51, v63, 0xbacd, -v79
	v_fmamk_f16 v60, v65, 0xb836, v80
	v_fmamk_f16 v61, v63, 0xbbdd, v34
	v_fma_f16 v34, v63, 0xbbdd, -v34
	v_add_f16_e32 v64, v17, v28
	v_mul_f16_e32 v82, 0x3b29, v83
	v_sub_f16_e32 v67, v28, v17
	v_mul_f16_e32 v85, 0x3722, v90
	v_mul_f16_e32 v66, 0x35c8, v83
	v_fmamk_f16 v62, v65, 0x31e1, v35
	v_add_f16_e32 v51, v24, v51
	v_add_f16_e32 v60, v48, v60
	v_add_f16_e32 v34, v24, v34
	v_fmac_f16_e32 v35, 0xb1e1, v65
	v_fma_f16 v68, v64, 0x3722, -v82
	v_mul_f16_e32 v69, 0x3b76, v90
	v_fmamk_f16 v70, v67, 0x3b29, v85
	v_fmamk_f16 v71, v64, 0x3b76, v66
	v_fma_f16 v66, v64, 0x3b76, -v66
	v_sub_f16_e32 v84, v55, v43
	v_add_f16_e32 v61, v24, v61
	v_add_f16_e32 v62, v48, v62
	;; [unrolled: 1-line block ×4, first 2 shown]
	v_fmamk_f16 v68, v67, 0xb5c8, v69
	v_add_f16_e32 v60, v70, v60
	v_add_f16_e32 v94, v43, v55
	;; [unrolled: 1-line block ×4, first 2 shown]
	v_mul_f16_e32 v88, 0xbbf7, v84
	v_fmac_f16_e32 v69, 0x35c8, v67
	v_mul_f16_e32 v70, 0xb836, v84
	v_add_f16_e32 v61, v71, v61
	v_add_f16_e32 v62, v68, v62
	v_sub_f16_e32 v68, v29, v16
	v_mul_f16_e32 v93, 0x2de8, v94
	v_fma_f16 v71, v66, 0x2de8, -v88
	v_mul_f16_e32 v72, 0xbacd, v94
	v_add_f16_e32 v35, v69, v35
	v_fmamk_f16 v69, v66, 0xbacd, v70
	v_sub_f16_e32 v86, v54, v44
	v_fmamk_f16 v73, v68, 0xbbf7, v93
	v_add_f16_e32 v51, v71, v51
	v_fmamk_f16 v71, v68, 0x3836, v72
	v_fma_f16 v70, v66, 0xbacd, -v70
	v_add_f16_e32 v61, v69, v61
	v_add_f16_e32 v91, v44, v54
	;; [unrolled: 1-line block ×3, first 2 shown]
	v_mul_f16_e32 v98, 0x3a62, v86
	v_add_f16_e32 v60, v73, v60
	v_add_f16_e32 v62, v71, v62
	;; [unrolled: 1-line block ×3, first 2 shown]
	v_sub_f16_e32 v70, v30, v19
	v_fmac_f16_e32 v72, 0xb836, v68
	v_mul_f16_e32 v71, 0x3964, v86
	v_fma_f16 v73, v69, 0xb8d2, -v98
	v_mul_f16_e32 v74, 0x39e9, v91
	v_mul_f16_e32 v102, 0xb8d2, v91
	v_add_f16_e32 v35, v72, v35
	v_fmamk_f16 v72, v69, 0x39e9, v71
	v_add_f16_e32 v51, v73, v51
	v_fmamk_f16 v73, v70, 0xb964, v74
	v_fma_f16 v71, v69, 0x39e9, -v71
	v_sub_f16_e32 v89, v59, v45
	v_fmamk_f16 v75, v70, 0x3a62, v102
	v_add_f16_e32 v95, v45, v59
	v_add_f16_e32 v62, v73, v62
	;; [unrolled: 1-line block ×4, first 2 shown]
	v_mul_f16_e32 v103, 0xb5c8, v89
	v_fmac_f16_e32 v74, 0x3964, v70
	v_mul_f16_e32 v73, 0xba62, v89
	v_add_f16_e32 v60, v75, v60
	v_add_f16_e32 v61, v72, v61
	v_sub_f16_e32 v72, v31, v18
	v_mul_f16_e32 v104, 0x3b76, v95
	v_fma_f16 v75, v71, 0x3b76, -v103
	v_mul_f16_e32 v76, 0xb8d2, v95
	v_add_f16_e32 v35, v74, v35
	v_fmamk_f16 v74, v71, 0xb8d2, v73
	v_add_f16_e32 v97, v46, v58
	v_fmamk_f16 v77, v72, 0xb5c8, v104
	v_add_f16_e32 v51, v75, v51
	v_fmamk_f16 v75, v72, 0x3a62, v76
	v_fma_f16 v73, v71, 0xb8d2, -v73
	v_add_f16_e32 v61, v74, v61
	v_sub_f16_e32 v92, v58, v46
	v_sub_f16_e32 v74, v32, v21
	v_mul_f16_e32 v107, 0xbbdd, v97
	v_add_f16_e32 v60, v77, v60
	v_add_f16_e32 v62, v75, v62
	;; [unrolled: 1-line block ×4, first 2 shown]
	v_mul_f16_e32 v105, 0xb1e1, v92
	v_fmac_f16_e32 v76, 0xba62, v72
	v_mul_f16_e32 v75, 0x3b29, v92
	v_fmamk_f16 v96, v74, 0xb1e1, v107
	v_mul_f16_e32 v78, 0x3722, v97
	v_fma_f16 v77, v73, 0xbbdd, -v105
	v_add_f16_e32 v35, v76, v35
	v_fmamk_f16 v76, v73, 0x3722, v75
	v_add_f16_e32 v60, v96, v60
	v_fma_f16 v75, v73, 0x3722, -v75
	v_sub_f16_e32 v96, v53, v49
	v_add_f16_e32 v51, v77, v51
	v_fmamk_f16 v77, v74, 0xbb29, v78
	v_add_f16_e32 v99, v49, v53
	v_add_f16_e32 v34, v75, v34
	;; [unrolled: 1-line block ×3, first 2 shown]
	v_mul_f16_e32 v106, 0x3964, v96
	v_add_f16_e32 v61, v76, v61
	v_add_f16_e32 v62, v77, v62
	v_sub_f16_e32 v76, v33, v20
	v_mul_f16_e32 v108, 0x39e9, v99
	v_fmac_f16_e32 v78, 0x3b29, v74
	v_mul_f16_e32 v77, 0xbbb2, v96
	v_fma_f16 v100, v75, 0x39e9, -v106
	v_mul_f16_e32 v111, 0xb461, v99
	v_fmamk_f16 v101, v76, 0x3964, v108
	v_add_f16_e32 v35, v78, v35
	v_fmamk_f16 v78, v75, 0xb461, v77
	v_add_f16_e32 v51, v100, v51
	v_fmamk_f16 v109, v76, 0x3bb2, v111
	v_sub_f16_e32 v100, v52, v50
	v_add_f16_e32 v60, v101, v60
	v_add_f16_e32 v112, v78, v61
	v_fma_f16 v61, v75, 0xb461, -v77
	v_add_f16_e32 v113, v109, v62
	v_add_f16_e32 v77, v27, v26
	v_mul_f16_e32 v109, 0xbbb2, v100
	v_add_f16_e32 v101, v50, v52
	v_add_f16_e32 v114, v61, v34
	v_fmac_f16_e32 v111, 0xbbb2, v76
	v_sub_f16_e32 v78, v26, v27
	v_fma_f16 v34, v77, 0xb461, -v109
	v_mul_f16_e32 v110, 0xb461, v101
	v_mul_f16_e32 v62, 0x3bf7, v100
	;; [unrolled: 1-line block ×3, first 2 shown]
	v_add_f16_e32 v111, v111, v35
	v_add_f16_e32 v61, v34, v51
	v_fmamk_f16 v34, v78, 0xbbb2, v110
	v_fmamk_f16 v35, v77, 0x2de8, v62
	;; [unrolled: 1-line block ×3, first 2 shown]
	v_fma_f16 v116, v77, 0x2de8, -v62
	v_fmac_f16_e32 v115, 0x3bf7, v78
	v_add_f16_e32 v62, v34, v60
	v_add_f16_e32 v34, v35, v112
	;; [unrolled: 1-line block ×5, first 2 shown]
	s_barrier
	buffer_gl0_inv
	s_and_saveexec_b32 s1, vcc_lo
	s_cbranch_execz .LBB0_17
; %bb.16:
	v_mul_f16_e32 v111, 0xb836, v65
	v_mul_f16_e32 v114, 0x3b29, v67
	;; [unrolled: 1-line block ×5, first 2 shown]
	v_sub_f16_e32 v80, v80, v111
	v_mul_f16_e32 v111, 0xbbf7, v68
	v_sub_f16_e32 v85, v85, v114
	v_add_f16_e32 v79, v112, v79
	v_mul_f16_e32 v115, 0x2de8, v66
	v_add_f16_e32 v80, v48, v80
	v_sub_f16_e32 v93, v93, v111
	v_mul_f16_e32 v118, 0xb5c8, v72
	v_sub_f16_e32 v102, v102, v117
	v_add_f16_e32 v82, v113, v82
	v_add_f16_e32 v80, v85, v80
	;; [unrolled: 1-line block ×3, first 2 shown]
	v_mul_f16_e32 v116, 0xb8d2, v69
	v_mul_f16_e32 v85, 0xb1e1, v74
	v_sub_f16_e32 v104, v104, v118
	v_add_f16_e32 v80, v93, v80
	v_add_f16_e32 v88, v115, v88
	;; [unrolled: 1-line block ×3, first 2 shown]
	v_mul_f16_e32 v114, 0x3b76, v71
	v_mul_f16_e32 v82, 0x3964, v76
	v_add_f16_e32 v80, v102, v80
	v_sub_f16_e32 v85, v107, v85
	v_add_f16_e32 v98, v116, v98
	v_add_f16_e32 v79, v88, v79
	v_mul_f16_e32 v107, 0xb8d2, v87
	v_add_f16_e32 v80, v104, v80
	v_mul_f16_e32 v119, 0xbbdd, v73
	v_sub_f16_e32 v82, v108, v82
	v_add_f16_e32 v79, v98, v79
	v_fmamk_f16 v102, v65, 0x3a62, v107
	v_add_f16_e32 v80, v85, v80
	v_add_f16_e32 v85, v114, v103
	v_mul_f16_e32 v103, 0xb461, v90
	v_mul_f16_e32 v93, 0x39e9, v75
	;; [unrolled: 1-line block ×3, first 2 shown]
	v_add_f16_e32 v80, v82, v80
	v_add_f16_e32 v79, v85, v79
	;; [unrolled: 1-line block ×4, first 2 shown]
	v_fmamk_f16 v102, v67, 0xbbb2, v103
	v_mul_f16_e32 v104, 0x3b76, v94
	v_sub_f16_e32 v98, v110, v98
	v_add_f16_e32 v82, v82, v79
	v_add_f16_e32 v93, v93, v106
	;; [unrolled: 1-line block ×3, first 2 shown]
	v_fmamk_f16 v102, v68, 0x35c8, v104
	v_mul_f16_e32 v105, 0xbacd, v91
	v_mul_f16_e32 v125, 0xba62, v81
	;; [unrolled: 1-line block ×3, first 2 shown]
	v_add_f16_e32 v79, v98, v80
	v_add_f16_e32 v80, v93, v82
	;; [unrolled: 1-line block ×3, first 2 shown]
	v_fmamk_f16 v85, v70, 0x3836, v105
	v_mul_f16_e32 v108, 0x2de8, v95
	v_fmamk_f16 v93, v63, 0xb8d2, v125
	v_mul_f16_e32 v126, 0x3bb2, v83
	v_add_f16_e32 v88, v88, v109
	v_add_f16_e32 v82, v85, v82
	v_fmamk_f16 v85, v72, 0xbbf7, v108
	v_mul_f16_e32 v109, 0x39e9, v97
	v_add_f16_e32 v93, v24, v93
	v_fmamk_f16 v98, v64, 0xb461, v126
	v_mul_f16_e32 v115, 0xb5c8, v84
	;; [unrolled: 3-line block ×4, first 2 shown]
	v_add_f16_e32 v82, v85, v82
	v_fmamk_f16 v85, v76, 0x31e1, v110
	v_add_f16_e32 v80, v88, v80
	v_add_f16_e32 v88, v98, v93
	v_fmamk_f16 v93, v69, 0xbacd, v116
	v_mul_f16_e32 v117, 0x3bf7, v89
	v_mul_f16_e32 v137, 0xb461, v87
	v_add_f16_e32 v82, v85, v82
	v_mul_f16_e32 v111, 0x3722, v101
	v_add_f16_e32 v85, v93, v88
	v_fmamk_f16 v88, v71, 0x2de8, v117
	v_mul_f16_e32 v123, 0xb964, v92
	v_fmamk_f16 v98, v65, 0x3bb2, v137
	v_mul_f16_e32 v138, 0xbacd, v90
	v_fmamk_f16 v93, v78, 0xbb29, v111
	v_add_f16_e32 v85, v88, v85
	v_fmamk_f16 v88, v73, 0x39e9, v123
	v_mul_f16_e32 v124, 0xb1e1, v96
	v_add_f16_e32 v98, v48, v98
	v_fmamk_f16 v102, v67, 0xb836, v138
	v_mul_f16_e32 v139, 0x39e9, v94
	v_add_f16_e32 v85, v88, v85
	v_fmamk_f16 v88, v75, 0xbbdd, v124
	v_add_f16_e32 v82, v93, v82
	v_add_f16_e32 v93, v102, v98
	v_fmamk_f16 v98, v68, 0xb964, v139
	v_mul_f16_e32 v140, 0x3722, v91
	v_mul_f16_e32 v132, 0xbbb2, v81
	v_add_f16_e32 v85, v88, v85
	v_mul_f16_e32 v147, 0xbbdd, v95
	v_add_f16_e32 v88, v98, v93
	v_fmamk_f16 v93, v70, 0x3b29, v140
	v_fmamk_f16 v102, v63, 0xb461, v132
	v_mul_f16_e32 v120, 0x3836, v83
	v_mul_f16_e32 v127, 0x3b29, v100
	;; [unrolled: 1-line block ×3, first 2 shown]
	v_add_f16_e32 v88, v93, v88
	v_fmamk_f16 v93, v72, 0x31e1, v147
	v_add_f16_e32 v102, v24, v102
	v_fmamk_f16 v106, v64, 0xbacd, v120
	v_mul_f16_e32 v112, 0x3964, v84
	v_fmamk_f16 v98, v77, 0x3722, v127
	v_add_f16_e32 v88, v93, v88
	v_fmamk_f16 v93, v74, 0xbbf7, v148
	v_mul_f16_e32 v131, 0x3b76, v99
	v_add_f16_e32 v102, v106, v102
	v_fmamk_f16 v106, v66, 0x39e9, v112
	v_mul_f16_e32 v113, 0xbb29, v86
	v_add_f16_e32 v88, v93, v88
	v_fmamk_f16 v93, v76, 0x35c8, v131
	v_add_f16_e32 v85, v98, v85
	v_add_f16_e32 v98, v106, v102
	v_fmamk_f16 v102, v69, 0x3722, v113
	v_mul_f16_e32 v114, 0xb1e1, v89
	v_mul_f16_e32 v149, 0x2de8, v87
	v_add_f16_e32 v88, v93, v88
	v_mul_f16_e32 v136, 0xb8d2, v101
	v_add_f16_e32 v93, v102, v98
	v_fmamk_f16 v98, v71, 0xbbdd, v114
	v_mul_f16_e32 v118, 0x3bf7, v92
	v_fmamk_f16 v106, v65, 0x3bf7, v149
	v_mul_f16_e32 v133, 0xbbdd, v90
	v_add_f16_e32 v25, v25, v24
	v_fmamk_f16 v102, v78, 0x3a62, v136
	v_add_f16_e32 v93, v98, v93
	v_fmamk_f16 v98, v73, 0x2de8, v118
	v_mul_f16_e32 v119, 0xb5c8, v96
	v_add_f16_e32 v106, v48, v106
	v_fmamk_f16 v121, v67, 0x31e1, v133
	v_mul_f16_e32 v134, 0xb461, v94
	v_add_f16_e32 v25, v28, v25
	v_add_f16_e32 v28, v57, v48
	;; [unrolled: 1-line block ×3, first 2 shown]
	v_fmamk_f16 v98, v75, 0x3b76, v119
	v_add_f16_e32 v88, v102, v88
	v_add_f16_e32 v102, v121, v106
	v_fmamk_f16 v106, v68, 0xbbb2, v134
	v_mul_f16_e32 v135, 0x3b76, v91
	v_mul_f16_e32 v150, 0xbbf7, v81
	v_add_f16_e32 v25, v29, v25
	v_add_f16_e32 v28, v56, v28
	;; [unrolled: 1-line block ×4, first 2 shown]
	v_fmamk_f16 v102, v70, 0xb5c8, v135
	v_mul_f16_e32 v151, 0x3722, v95
	v_fmamk_f16 v122, v63, 0x2de8, v150
	v_mul_f16_e32 v152, 0xb1e1, v83
	v_add_f16_e32 v25, v30, v25
	v_add_f16_e32 v28, v55, v28
	v_mul_f16_e32 v121, 0xba62, v100
	v_add_f16_e32 v98, v102, v98
	v_fmamk_f16 v102, v72, 0x3b29, v151
	v_mul_f16_e32 v153, 0xbacd, v97
	v_add_f16_e32 v122, v24, v122
	v_fmamk_f16 v128, v64, 0xbbdd, v152
	v_mul_f16_e32 v154, 0x3bb2, v84
	v_add_f16_e32 v25, v31, v25
	v_add_f16_e32 v28, v54, v28
	v_fmamk_f16 v106, v77, 0xb8d2, v121
	v_add_f16_e32 v98, v102, v98
	v_fmamk_f16 v102, v74, 0x3836, v153
	v_mul_f16_e32 v155, 0xb8d2, v99
	v_add_f16_e32 v122, v128, v122
	v_fmamk_f16 v128, v66, 0xb461, v154
	v_mul_f16_e32 v156, 0x35c8, v86
	v_mul_f16_e32 v30, 0xb5c8, v81
	v_add_f16_e32 v25, v32, v25
	v_add_f16_e32 v28, v59, v28
	;; [unrolled: 1-line block ×3, first 2 shown]
	v_fmamk_f16 v102, v76, 0xba62, v155
	v_add_f16_e32 v93, v106, v93
	v_add_f16_e32 v106, v128, v122
	v_fmamk_f16 v122, v69, 0x3b76, v156
	v_mul_f16_e32 v157, 0xbb29, v89
	v_mul_f16_e32 v142, 0x3722, v87
	v_fmamk_f16 v31, v63, 0x3b76, v30
	v_mul_f16_e32 v54, 0xb964, v83
	v_add_f16_e32 v25, v33, v25
	v_add_f16_e32 v28, v58, v28
	;; [unrolled: 1-line block ×3, first 2 shown]
	v_mul_f16_e32 v158, 0x39e9, v101
	v_add_f16_e32 v102, v122, v106
	v_fmamk_f16 v106, v71, 0x3722, v157
	v_mul_f16_e32 v159, 0xb836, v92
	v_fmamk_f16 v129, v65, 0x3b29, v142
	v_mul_f16_e32 v128, 0xb8d2, v90
	v_add_f16_e32 v31, v24, v31
	v_fmamk_f16 v32, v64, 0x39e9, v54
	v_mul_f16_e32 v59, 0xbb29, v84
	v_add_f16_e32 v25, v26, v25
	v_add_f16_e32 v26, v53, v28
	v_fmamk_f16 v122, v78, 0xb964, v158
	v_add_f16_e32 v102, v106, v102
	v_fmamk_f16 v106, v73, 0xbacd, v159
	v_mul_f16_e32 v160, 0x3a62, v96
	v_add_f16_e32 v130, v48, v129
	v_fmamk_f16 v141, v67, 0x3a62, v128
	v_mul_f16_e32 v129, 0xbbdd, v94
	;; [unrolled: 3-line block ×3, first 2 shown]
	v_add_f16_e32 v25, v27, v25
	v_add_f16_e32 v26, v52, v26
	;; [unrolled: 1-line block ×3, first 2 shown]
	v_fmamk_f16 v106, v75, 0xb8d2, v160
	v_add_f16_e32 v98, v122, v98
	v_add_f16_e32 v122, v141, v130
	v_fmamk_f16 v141, v68, 0xb1e1, v129
	v_mul_f16_e32 v130, 0xb461, v91
	v_mul_f16_e32 v162, 0xbb29, v81
	v_add_f16_e32 v31, v32, v31
	v_fmamk_f16 v27, v69, 0x2de8, v28
	v_mul_f16_e32 v32, 0xbbb2, v89
	v_add_f16_e32 v20, v20, v25
	v_add_f16_e32 v25, v50, v26
	v_add_f16_e32 v102, v106, v102
	v_add_f16_e32 v106, v141, v122
	v_fmamk_f16 v122, v70, 0xbbb2, v130
	v_mul_f16_e32 v143, 0x39e9, v95
	v_fmamk_f16 v145, v63, 0x3722, v162
	v_mul_f16_e32 v163, 0xba62, v83
	v_add_f16_e32 v26, v27, v31
	v_fmamk_f16 v27, v71, 0xb461, v32
	v_mul_f16_e32 v31, 0xba62, v92
	v_add_f16_e32 v20, v21, v20
	v_add_f16_e32 v21, v49, v25
	v_mul_f16_e32 v161, 0x3964, v100
	v_add_f16_e32 v106, v122, v106
	v_fmamk_f16 v122, v72, 0xb964, v143
	v_mul_f16_e32 v144, 0x3b76, v97
	v_add_f16_e32 v146, v24, v145
	v_fmamk_f16 v164, v64, 0xb8d2, v163
	;; [unrolled: 3-line block ×3, first 2 shown]
	v_add_f16_e32 v18, v18, v20
	v_add_f16_e32 v20, v46, v21
	v_mul_f16_e32 v21, 0xb836, v96
	v_fmamk_f16 v141, v77, 0x39e9, v161
	v_add_f16_e32 v106, v122, v106
	v_fmamk_f16 v122, v74, 0x35c8, v144
	v_mul_f16_e32 v145, 0x2de8, v99
	v_add_f16_e32 v146, v164, v146
	v_fmamk_f16 v164, v66, 0xbbdd, v165
	v_mul_f16_e32 v166, 0x3bb2, v86
	v_add_f16_e32 v26, v27, v26
	v_add_f16_e32 v18, v19, v18
	;; [unrolled: 1-line block ×3, first 2 shown]
	v_fmamk_f16 v20, v75, 0xbacd, v21
	v_mul_f16_e32 v27, 0xb1e1, v100
	v_add_f16_e32 v106, v122, v106
	v_fmamk_f16 v122, v76, 0x3bf7, v145
	v_add_f16_e32 v102, v141, v102
	v_add_f16_e32 v141, v164, v146
	v_fmamk_f16 v164, v69, 0xb461, v166
	v_mul_f16_e32 v167, 0x3964, v89
	v_mul_f16_e32 v168, 0x39e9, v87
	v_add_f16_e32 v16, v16, v18
	v_add_f16_e32 v18, v44, v19
	;; [unrolled: 1-line block ×3, first 2 shown]
	v_fmamk_f16 v20, v77, 0xbbdd, v27
	v_add_f16_e32 v106, v122, v106
	v_mul_f16_e32 v146, 0xbacd, v101
	v_add_f16_e32 v122, v164, v141
	v_fmamk_f16 v141, v71, 0x39e9, v167
	v_mul_f16_e32 v164, 0xb5c8, v92
	v_fmamk_f16 v170, v65, 0x3964, v168
	v_mul_f16_e32 v171, 0x2de8, v90
	v_add_f16_e32 v16, v17, v16
	v_add_f16_e32 v17, v43, v18
	;; [unrolled: 1-line block ×3, first 2 shown]
	v_fma_f16 v19, v63, 0xb8d2, -v125
	v_fmamk_f16 v169, v78, 0x3836, v146
	v_add_f16_e32 v122, v141, v122
	v_fmamk_f16 v141, v73, 0x3b76, v164
	v_mul_f16_e32 v172, 0xbbf7, v96
	v_add_f16_e32 v170, v48, v170
	v_fmamk_f16 v173, v67, 0x3bf7, v171
	v_mul_f16_e32 v174, 0xb8d2, v94
	v_add_f16_e32 v19, v24, v19
	v_fma_f16 v26, v64, 0xb461, -v126
	v_fmac_f16_e32 v137, 0xbbb2, v65
	v_add_f16_e32 v122, v141, v122
	v_fmamk_f16 v141, v75, 0x2de8, v172
	v_add_f16_e32 v106, v169, v106
	v_add_f16_e32 v169, v173, v170
	v_fmamk_f16 v170, v68, 0x3a62, v174
	v_mul_f16_e32 v173, 0xbbdd, v91
	v_add_f16_e32 v16, v40, v16
	v_add_f16_e32 v19, v26, v19
	v_fma_f16 v26, v66, 0x3b76, -v115
	v_add_f16_e32 v40, v48, v137
	v_fmac_f16_e32 v138, 0x3836, v67
	v_add_f16_e32 v122, v141, v122
	v_add_f16_e32 v141, v170, v169
	v_fmamk_f16 v169, v70, 0x31e1, v173
	v_mul_f16_e32 v170, 0xbacd, v95
	v_add_f16_e32 v19, v26, v19
	v_fma_f16 v26, v69, 0xbacd, -v116
	v_add_f16_e32 v40, v138, v40
	v_fmac_f16_e32 v139, 0x3964, v68
	v_add_f16_e32 v141, v169, v141
	v_fmamk_f16 v169, v72, 0xb836, v170
	v_mul_f16_e32 v180, 0xb461, v97
	v_add_f16_e32 v19, v26, v19
	v_fma_f16 v26, v71, 0x2de8, -v117
	v_add_f16_e32 v40, v139, v40
	v_fmac_f16_e32 v140, 0xbb29, v70
	;; [unrolled: 7-line block ×3, first 2 shown]
	v_add_f16_e32 v141, v169, v141
	v_fmamk_f16 v169, v76, 0xbb29, v183
	v_mul_f16_e32 v87, 0x3b76, v87
	v_add_f16_e32 v17, v42, v17
	v_add_f16_e32 v19, v26, v19
	v_fma_f16 v26, v75, 0xbbdd, -v124
	v_add_f16_e32 v40, v147, v40
	v_fmac_f16_e32 v148, 0x3bf7, v74
	v_add_f16_e32 v169, v169, v141
	v_mul_f16_e32 v141, 0x3b76, v101
	v_fmamk_f16 v187, v65, 0x35c8, v87
	v_mul_f16_e32 v90, 0x39e9, v90
	v_add_f16_e32 v17, v41, v17
	v_add_f16_e32 v19, v26, v19
	v_fma_f16 v26, v77, 0x3722, -v127
	v_add_f16_e32 v40, v148, v40
	v_fmac_f16_e32 v131, 0xb5c8, v76
	v_fma_f16 v41, v63, 0xb461, -v132
	v_fmac_f16_e32 v149, 0xbbf7, v65
	v_fmamk_f16 v186, v78, 0xb5c8, v141
	v_add_f16_e32 v187, v48, v187
	v_fmamk_f16 v189, v67, 0x3964, v90
	v_mul_f16_e32 v94, 0x3722, v94
	v_add_f16_e32 v19, v26, v19
	v_add_f16_e32 v26, v131, v40
	;; [unrolled: 1-line block ×3, first 2 shown]
	v_fma_f16 v41, v64, 0xbacd, -v120
	v_add_f16_e32 v42, v48, v149
	v_fmac_f16_e32 v133, 0xb1e1, v67
	v_add_f16_e32 v169, v186, v169
	v_add_f16_e32 v186, v189, v187
	v_fmamk_f16 v187, v68, 0x3b29, v94
	v_mul_f16_e32 v91, 0x2de8, v91
	v_fma_f16 v43, v63, 0x2de8, -v150
	v_add_f16_e32 v40, v41, v40
	v_fma_f16 v41, v66, 0x39e9, -v112
	v_add_f16_e32 v42, v133, v42
	v_fmac_f16_e32 v134, 0x3bb2, v68
	v_add_f16_e32 v186, v187, v186
	v_fmamk_f16 v57, v70, 0x3bf7, v91
	v_mul_f16_e32 v95, 0xb461, v95
	v_add_f16_e32 v43, v24, v43
	v_fma_f16 v44, v64, 0xbbdd, -v152
	v_add_f16_e32 v40, v41, v40
	v_fma_f16 v41, v69, 0x3722, -v113
	v_add_f16_e32 v42, v134, v42
	v_fmac_f16_e32 v135, 0x35c8, v70
	v_add_f16_e32 v29, v57, v186
	v_fmamk_f16 v56, v72, 0x3bb2, v95
	v_mul_f16_e32 v55, 0xb8d2, v97
	v_add_f16_e32 v43, v44, v43
	;; [unrolled: 9-line block ×3, first 2 shown]
	v_fma_f16 v44, v69, 0x3b76, -v156
	v_add_f16_e32 v40, v41, v40
	v_fma_f16 v41, v73, 0x2de8, -v118
	v_add_f16_e32 v42, v151, v42
	v_fmac_f16_e32 v153, 0xb836, v74
	v_add_f16_e32 v29, v56, v29
	v_fmamk_f16 v52, v76, 0x3836, v33
	v_add_f16_e32 v43, v44, v43
	v_fma_f16 v44, v71, 0x3722, -v157
	v_add_f16_e32 v40, v41, v40
	v_fma_f16 v41, v75, 0x3b76, -v119
	v_add_f16_e32 v42, v153, v42
	v_fmac_f16_e32 v155, 0x3a62, v76
	v_add_f16_e32 v25, v52, v29
	v_mul_f16_e32 v29, 0xbbdd, v101
	v_add_f16_e32 v43, v44, v43
	v_fma_f16 v44, v73, 0xbacd, -v159
	v_add_f16_e32 v40, v41, v40
	v_fma_f16 v41, v77, 0xb8d2, -v121
	v_add_f16_e32 v42, v155, v42
	v_fmac_f16_e32 v158, 0x3964, v78
	v_fmamk_f16 v45, v78, 0x31e1, v29
	v_add_f16_e32 v43, v44, v43
	v_fma_f16 v44, v75, 0xb8d2, -v160
	v_add_f16_e32 v40, v41, v40
	v_fmac_f16_e32 v142, 0xbb29, v65
	v_add_f16_e32 v41, v158, v42
	v_fma_f16 v42, v63, 0x3722, -v162
	v_add_f16_e32 v25, v45, v25
	v_add_f16_e32 v43, v44, v43
	v_fma_f16 v44, v77, 0x39e9, -v161
	v_add_f16_e32 v45, v48, v142
	v_fmac_f16_e32 v128, 0xba62, v67
	v_add_f16_e32 v42, v24, v42
	v_fma_f16 v46, v64, 0xb8d2, -v163
	v_fmac_f16_e32 v168, 0xb964, v65
	v_add_f16_e32 v43, v44, v43
	v_add_f16_e32 v44, v128, v45
	v_fma_f16 v45, v66, 0xbbdd, -v165
	v_add_f16_e32 v42, v46, v42
	v_add_f16_e32 v46, v48, v168
	v_fmac_f16_e32 v171, 0xbbf7, v67
	v_fmac_f16_e32 v174, 0xba62, v68
	;; [unrolled: 1-line block ×3, first 2 shown]
	v_add_f16_e32 v42, v45, v42
	v_fma_f16 v45, v69, 0xb461, -v166
	v_add_f16_e32 v46, v171, v46
	v_mul_f16_e32 v176, 0xb964, v81
	v_fmac_f16_e32 v170, 0x3836, v72
	v_mul_f16_e32 v179, 0xbbf7, v83
	v_add_f16_e32 v42, v45, v42
	v_fma_f16 v45, v71, 0x39e9, -v167
	v_add_f16_e32 v46, v174, v46
	v_fmamk_f16 v178, v63, 0x39e9, v176
	v_mul_f16_e32 v175, 0xb836, v100
	v_fmac_f16_e32 v180, 0x3bb2, v74
	v_add_f16_e32 v42, v45, v42
	v_fma_f16 v45, v73, 0x3b76, -v164
	v_add_f16_e32 v46, v173, v46
	v_add_f16_e32 v178, v24, v178
	v_fmamk_f16 v181, v64, 0x2de8, v179
	v_mul_f16_e32 v182, 0xba62, v84
	v_add_f16_e32 v42, v45, v42
	v_fma_f16 v45, v75, 0x2de8, -v172
	v_add_f16_e32 v46, v170, v46
	v_fmac_f16_e32 v107, 0xba62, v65
	v_fmac_f16_e32 v183, 0x3b29, v76
	v_fma_f16 v49, v63, 0x39e9, -v176
	v_add_f16_e32 v42, v45, v42
	v_fma_f16 v45, v77, 0xbacd, -v175
	v_add_f16_e32 v46, v180, v46
	v_fmac_f16_e32 v87, 0xb5c8, v65
	v_fmamk_f16 v177, v77, 0xbacd, v175
	v_add_f16_e32 v178, v181, v178
	v_fmamk_f16 v181, v66, 0xb8d2, v182
	v_mul_f16_e32 v184, 0xb1e1, v86
	v_fma_f16 v30, v63, 0x3b76, -v30
	v_add_f16_e32 v20, v48, v107
	v_add_f16_e32 v42, v45, v42
	v_add_f16_e32 v45, v183, v46
	v_add_f16_e32 v46, v24, v49
	v_fma_f16 v49, v64, 0x2de8, -v179
	v_add_f16_e32 v48, v48, v87
	v_fmac_f16_e32 v90, 0xb964, v67
	v_add_f16_e32 v122, v177, v122
	v_add_f16_e32 v177, v181, v178
	v_fmamk_f16 v178, v69, 0xbbdd, v184
	v_mul_f16_e32 v181, 0x3836, v89
	v_fmac_f16_e32 v103, 0x3bb2, v67
	v_add_f16_e32 v24, v24, v30
	v_fma_f16 v30, v64, 0x39e9, -v54
	v_add_f16_e32 v46, v49, v46
	v_fma_f16 v49, v66, 0xb8d2, -v182
	v_add_f16_e32 v48, v90, v48
	v_fmac_f16_e32 v94, 0xbb29, v68
	v_add_f16_e32 v177, v178, v177
	v_fmamk_f16 v178, v71, 0xbacd, v181
	v_mul_f16_e32 v185, 0x3bb2, v92
	v_add_f16_e32 v20, v103, v20
	v_fmac_f16_e32 v104, 0xb5c8, v68
	v_fmac_f16_e32 v129, 0x31e1, v68
	v_add_f16_e32 v24, v30, v24
	v_fma_f16 v30, v66, 0x3722, -v59
	v_add_f16_e32 v46, v49, v46
	v_fma_f16 v49, v69, 0xbbdd, -v184
	v_add_f16_e32 v48, v94, v48
	v_fmac_f16_e32 v91, 0xbbf7, v70
	v_add_f16_e32 v177, v178, v177
	v_fmamk_f16 v178, v73, 0xb461, v185
	v_mul_f16_e32 v188, 0x3b29, v96
	v_add_f16_e32 v20, v104, v20
	v_fmac_f16_e32 v105, 0xb836, v70
	v_add_f16_e32 v44, v129, v44
	v_fmac_f16_e32 v130, 0x3bb2, v70
	v_add_f16_e32 v24, v30, v24
	v_fma_f16 v28, v69, 0x2de8, -v28
	v_add_f16_e32 v46, v49, v46
	v_fma_f16 v49, v71, 0xbacd, -v181
	v_add_f16_e32 v48, v91, v48
	v_fmac_f16_e32 v95, 0xbbb2, v72
	v_add_f16_e32 v177, v178, v177
	v_fmamk_f16 v178, v75, 0x3722, v188
	v_add_f16_e32 v20, v105, v20
	v_fmac_f16_e32 v108, 0x3bf7, v72
	v_add_f16_e32 v44, v130, v44
	v_fmac_f16_e32 v143, 0x3964, v72
	v_add_f16_e32 v24, v28, v24
	v_fma_f16 v28, v71, 0xb461, -v32
	v_add_f16_e32 v30, v49, v46
	v_fma_f16 v46, v73, 0xb461, -v185
	v_add_f16_e32 v48, v95, v48
	v_fmac_f16_e32 v55, 0xba62, v74
	v_add_f16_e32 v177, v178, v177
	v_mul_f16_e32 v178, 0x35c8, v100
	v_add_f16_e32 v20, v108, v20
	v_fmac_f16_e32 v109, 0xb964, v74
	v_add_f16_e32 v44, v143, v44
	v_fmac_f16_e32 v144, 0xb5c8, v74
	v_add_f16_e32 v24, v28, v24
	v_fma_f16 v28, v73, 0xb8d2, -v31
	v_add_f16_e32 v30, v46, v30
	v_fma_f16 v32, v75, 0x3722, -v188
	v_add_f16_e32 v46, v55, v48
	v_fmac_f16_e32 v33, 0xb836, v76
	v_fmamk_f16 v187, v77, 0x3b76, v178
	v_add_f16_e32 v20, v109, v20
	v_fmac_f16_e32 v110, 0xb1e1, v76
	v_add_f16_e32 v44, v144, v44
	v_fmac_f16_e32 v145, 0xbbf7, v76
	v_add_f16_e32 v24, v28, v24
	v_fma_f16 v21, v75, 0xbacd, -v21
	v_add_f16_e32 v30, v32, v30
	v_add_f16_e32 v32, v33, v46
	v_mov_b32_e32 v33, 2
	v_add_f16_e32 v57, v187, v177
	v_add_f16_e32 v20, v110, v20
	v_fmac_f16_e32 v111, 0x3b29, v78
	v_fmac_f16_e32 v136, 0xba62, v78
	v_fma_f16 v31, v77, 0x3b76, -v178
	v_fmac_f16_e32 v29, 0xb1e1, v78
	v_add_f16_e32 v44, v145, v44
	v_fmac_f16_e32 v146, 0xb836, v78
	v_fmac_f16_e32 v141, 0x35c8, v78
	v_add_f16_e32 v21, v21, v24
	v_fma_f16 v24, v77, 0xbbdd, -v27
	v_lshlrev_b32_sdwa v27, v33, v39 dst_sel:DWORD dst_unused:UNUSED_PAD src0_sel:DWORD src1_sel:WORD_0
	v_pack_b32_f16 v18, v18, v25
	v_pack_b32_f16 v16, v16, v17
	v_add_f16_e32 v20, v111, v20
	v_pack_b32_f16 v17, v122, v106
	v_pack_b32_f16 v25, v57, v169
	v_add_f16_e32 v26, v136, v26
	v_add_f16_e32 v30, v31, v30
	;; [unrolled: 1-line block ×3, first 2 shown]
	v_pack_b32_f16 v31, v93, v88
	v_pack_b32_f16 v32, v102, v98
	v_add_f16_e32 v44, v146, v44
	v_add_f16_e32 v28, v141, v45
	v_pack_b32_f16 v33, v80, v79
	v_pack_b32_f16 v39, v85, v82
	v_add_f16_e32 v21, v24, v21
	ds_write2_b32 v27, v16, v18 offset1:1
	ds_write2_b32 v27, v25, v17 offset0:2 offset1:3
	ds_write2_b32 v27, v32, v31 offset0:4 offset1:5
	;; [unrolled: 1-line block ×3, first 2 shown]
	v_perm_b32 v16, v60, v35, 0x5040100
	v_perm_b32 v17, v51, v34, 0x5040100
	v_pack_b32_f16 v18, v19, v20
	v_perm_b32 v19, v62, v61, 0x5040100
	v_pack_b32_f16 v20, v43, v41
	v_pack_b32_f16 v24, v40, v26
	;; [unrolled: 1-line block ×5, first 2 shown]
	ds_write2_b32 v27, v17, v16 offset0:8 offset1:9
	ds_write2_b32 v27, v19, v18 offset0:10 offset1:11
	;; [unrolled: 1-line block ×4, first 2 shown]
	ds_write_b32 v27, v21 offset:64
.LBB0_17:
	s_or_b32 exec_lo, exec_lo, s1
	s_waitcnt lgkmcnt(0)
	s_barrier
	buffer_gl0_inv
	ds_read2_b32 v[16:17], v37 offset1:187
	v_add_nc_u32_e32 v18, 0x500, v37
	v_add_nc_u32_e32 v20, 0xb00, v37
	;; [unrolled: 1-line block ×3, first 2 shown]
	ds_read2_b32 v[18:19], v18 offset0:54 offset1:241
	ds_read2_b32 v[20:21], v20 offset0:44 offset1:231
	;; [unrolled: 1-line block ×3, first 2 shown]
	s_waitcnt lgkmcnt(0)
	s_barrier
	buffer_gl0_inv
	v_lshrrev_b32_e32 v27, 16, v17
	v_mul_f16_sdwa v28, v0, v17 dst_sel:DWORD dst_unused:UNUSED_PAD src0_sel:WORD_1 src1_sel:DWORD
	v_lshrrev_b32_e32 v26, 16, v16
	v_lshrrev_b32_e32 v29, 16, v18
	v_mul_f16_sdwa v40, v0, v27 dst_sel:DWORD dst_unused:UNUSED_PAD src0_sel:WORD_1 src1_sel:DWORD
	v_lshrrev_b32_e32 v30, 16, v19
	v_lshrrev_b32_e32 v31, 16, v20
	;; [unrolled: 1-line block ×4, first 2 shown]
	v_fma_f16 v27, v0, v27, -v28
	v_mul_f16_sdwa v28, v1, v18 dst_sel:DWORD dst_unused:UNUSED_PAD src0_sel:WORD_1 src1_sel:DWORD
	v_mul_f16_sdwa v41, v2, v19 dst_sel:DWORD dst_unused:UNUSED_PAD src0_sel:WORD_1 src1_sel:DWORD
	v_fmac_f16_e32 v40, v0, v17
	v_mul_f16_sdwa v0, v1, v29 dst_sel:DWORD dst_unused:UNUSED_PAD src0_sel:WORD_1 src1_sel:DWORD
	v_lshrrev_b32_e32 v39, 16, v25
	v_mul_f16_sdwa v42, v3, v20 dst_sel:DWORD dst_unused:UNUSED_PAD src0_sel:WORD_1 src1_sel:DWORD
	v_mul_f16_sdwa v43, v12, v21 dst_sel:DWORD dst_unused:UNUSED_PAD src0_sel:WORD_1 src1_sel:DWORD
	v_fma_f16 v17, v1, v29, -v28
	v_mul_f16_sdwa v28, v2, v30 dst_sel:DWORD dst_unused:UNUSED_PAD src0_sel:WORD_1 src1_sel:DWORD
	v_fma_f16 v29, v2, v30, -v41
	v_mul_f16_sdwa v30, v3, v31 dst_sel:DWORD dst_unused:UNUSED_PAD src0_sel:WORD_1 src1_sel:DWORD
	v_mul_f16_sdwa v41, v12, v32 dst_sel:DWORD dst_unused:UNUSED_PAD src0_sel:WORD_1 src1_sel:DWORD
	v_fmac_f16_e32 v0, v1, v18
	v_mul_f16_sdwa v1, v13, v33 dst_sel:DWORD dst_unused:UNUSED_PAD src0_sel:WORD_1 src1_sel:DWORD
	v_fma_f16 v31, v3, v31, -v42
	v_fmac_f16_e32 v28, v2, v19
	v_fmac_f16_e32 v30, v3, v20
	;; [unrolled: 1-line block ×3, first 2 shown]
	v_fma_f16 v2, v12, v32, -v43
	v_mul_f16_sdwa v3, v13, v24 dst_sel:DWORD dst_unused:UNUSED_PAD src0_sel:WORD_1 src1_sel:DWORD
	v_mul_f16_sdwa v12, v14, v39 dst_sel:DWORD dst_unused:UNUSED_PAD src0_sel:WORD_1 src1_sel:DWORD
	;; [unrolled: 1-line block ×3, first 2 shown]
	v_fmac_f16_e32 v1, v13, v24
	v_sub_f16_e32 v19, v16, v30
	v_fma_f16 v3, v13, v33, -v3
	v_fmac_f16_e32 v12, v14, v25
	v_fma_f16 v13, v14, v39, -v18
	v_sub_f16_e32 v1, v0, v1
	v_sub_f16_e32 v14, v26, v31
	v_fma_f16 v16, v16, 2.0, -v19
	v_sub_f16_e32 v3, v17, v3
	v_sub_f16_e32 v2, v27, v2
	v_fma_f16 v0, v0, 2.0, -v1
	v_sub_f16_e32 v12, v28, v12
	v_sub_f16_e32 v13, v29, v13
	;; [unrolled: 1-line block ×3, first 2 shown]
	v_fma_f16 v20, v26, 2.0, -v14
	v_fma_f16 v17, v17, 2.0, -v3
	v_fma_f16 v24, v27, 2.0, -v2
	v_sub_f16_e32 v25, v16, v0
	v_fma_f16 v0, v28, 2.0, -v12
	v_add_f16_e32 v28, v19, v3
	v_fma_f16 v3, v29, 2.0, -v13
	v_fma_f16 v21, v40, 2.0, -v18
	v_sub_f16_e32 v29, v14, v1
	v_add_f16_e32 v27, v18, v13
	v_sub_f16_e32 v31, v2, v12
	v_sub_f16_e32 v17, v20, v17
	;; [unrolled: 1-line block ×3, first 2 shown]
	v_fma_f16 v1, v19, 2.0, -v28
	v_sub_f16_e32 v26, v21, v0
	v_fma_f16 v32, v14, 2.0, -v29
	v_fma_f16 v12, v18, 2.0, -v27
	v_fma_f16 v14, v2, 2.0, -v31
	v_fma_f16 v20, v20, 2.0, -v17
	v_fma_f16 v13, v24, 2.0, -v30
	v_fma_f16 v16, v16, 2.0, -v25
	v_fma_f16 v0, v21, 2.0, -v26
	v_fmamk_f16 v3, v12, 0xb9a8, v1
	v_fmamk_f16 v19, v14, 0xb9a8, v32
	v_sub_f16_e32 v21, v20, v13
	v_fmamk_f16 v13, v27, 0x39a8, v28
	v_fmamk_f16 v24, v31, 0x39a8, v29
	v_sub_f16_e32 v2, v16, v0
	v_fmac_f16_e32 v3, 0x39a8, v14
	v_fmac_f16_e32 v19, 0xb9a8, v12
	v_fma_f16 v14, v20, 2.0, -v21
	v_add_f16_e32 v12, v25, v30
	v_sub_f16_e32 v20, v17, v26
	v_fmac_f16_e32 v13, 0x39a8, v31
	v_fmac_f16_e32 v24, 0xb9a8, v27
	v_fma_f16 v0, v16, 2.0, -v2
	v_fma_f16 v1, v1, 2.0, -v3
	;; [unrolled: 1-line block ×7, first 2 shown]
	v_pack_b32_f16 v18, v0, v14
	v_pack_b32_f16 v28, v1, v27
	;; [unrolled: 1-line block ×8, first 2 shown]
	ds_write2_b32 v47, v18, v28 offset1:17
	ds_write2_b32 v47, v29, v30 offset0:34 offset1:51
	ds_write2_b32 v47, v31, v32 offset0:68 offset1:85
	;; [unrolled: 1-line block ×3, first 2 shown]
	s_waitcnt lgkmcnt(0)
	s_barrier
	buffer_gl0_inv
	s_and_saveexec_b32 s1, s0
	s_cbranch_execz .LBB0_19
; %bb.18:
	v_add_nc_u32_e32 v2, 0x400, v37
	v_add_nc_u32_e32 v3, 0x800, v37
	;; [unrolled: 1-line block ×4, first 2 shown]
	ds_read2_b32 v[0:1], v37 offset1:136
	ds_read2_b32 v[16:17], v2 offset0:16 offset1:152
	ds_read2_b32 v[2:3], v3 offset0:32 offset1:168
	;; [unrolled: 1-line block ×4, first 2 shown]
	ds_read_b32 v61, v37 offset:5440
	s_waitcnt lgkmcnt(3)
	v_lshrrev_b32_e32 v21, 16, v2
	v_lshrrev_b32_e32 v14, 16, v0
	;; [unrolled: 1-line block ×6, first 2 shown]
	s_waitcnt lgkmcnt(2)
	v_lshrrev_b32_e32 v20, 16, v12
	v_lshrrev_b32_e32 v24, 16, v13
	s_waitcnt lgkmcnt(1)
	v_lshrrev_b32_e32 v51, 16, v34
	v_lshrrev_b32_e32 v60, 16, v35
	s_waitcnt lgkmcnt(0)
	v_lshrrev_b32_e32 v62, 16, v61
.LBB0_19:
	s_or_b32 exec_lo, exec_lo, s1
	s_and_saveexec_b32 s1, s0
	s_cbranch_execz .LBB0_21
; %bb.20:
	v_mul_f16_sdwa v28, v8, v27 dst_sel:DWORD dst_unused:UNUSED_PAD src0_sel:WORD_1 src1_sel:DWORD
	v_mul_f16_sdwa v18, v23, v62 dst_sel:DWORD dst_unused:UNUSED_PAD src0_sel:WORD_1 src1_sel:DWORD
	;; [unrolled: 1-line block ×5, first 2 shown]
	v_fmac_f16_e32 v28, v8, v1
	v_fmac_f16_e32 v18, v23, v61
	v_mul_f16_sdwa v32, v22, v60 dst_sel:DWORD dst_unused:UNUSED_PAD src0_sel:WORD_1 src1_sel:DWORD
	v_fma_f16 v23, v23, v62, -v29
	v_fma_f16 v27, v8, v27, -v30
	v_fmac_f16_e32 v31, v9, v16
	v_sub_f16_e32 v8, v28, v18
	v_fmac_f16_e32 v32, v22, v35
	v_mul_f16_sdwa v29, v22, v35 dst_sel:DWORD dst_unused:UNUSED_PAD src0_sel:WORD_1 src1_sel:DWORD
	v_mul_f16_sdwa v16, v9, v16 dst_sel:DWORD dst_unused:UNUSED_PAD src0_sel:WORD_1 src1_sel:DWORD
	;; [unrolled: 1-line block ×4, first 2 shown]
	v_mul_f16_e32 v30, 0xbbeb, v8
	v_add_f16_e32 v33, v23, v27
	v_sub_f16_e32 v1, v31, v32
	v_fma_f16 v22, v22, v60, -v29
	v_fma_f16 v9, v9, v26, -v16
	v_fmac_f16_e32 v35, v10, v17
	v_fmac_f16_e32 v39, v7, v34
	v_mul_f16_sdwa v34, v7, v34 dst_sel:DWORD dst_unused:UNUSED_PAD src0_sel:WORD_1 src1_sel:DWORD
	v_mul_f16_sdwa v17, v10, v17 dst_sel:DWORD dst_unused:UNUSED_PAD src0_sel:WORD_1 src1_sel:DWORD
	;; [unrolled: 1-line block ×4, first 2 shown]
	v_fmamk_f16 v16, v33, 0xb08e, v30
	v_mul_f16_e32 v26, 0x3482, v1
	v_add_f16_e32 v29, v22, v9
	v_sub_f16_e32 v43, v35, v39
	v_fma_f16 v7, v7, v51, -v34
	v_fma_f16 v10, v10, v25, -v17
	v_fmac_f16_e32 v41, v11, v2
	v_fmac_f16_e32 v42, v6, v13
	v_mul_f16_sdwa v13, v6, v13 dst_sel:DWORD dst_unused:UNUSED_PAD src0_sel:WORD_1 src1_sel:DWORD
	v_mul_f16_sdwa v2, v11, v2 dst_sel:DWORD dst_unused:UNUSED_PAD src0_sel:WORD_1 src1_sel:DWORD
	v_add_f16_e32 v16, v14, v16
	v_fmamk_f16 v40, v29, 0xbbad, v26
	v_mul_f16_e32 v17, 0x3b47, v43
	v_add_f16_e32 v25, v7, v10
	v_sub_f16_e32 v34, v41, v42
	v_fma_f16 v6, v6, v24, -v13
	v_fma_f16 v2, v11, v21, -v2
	v_add_f16_e32 v11, v40, v16
	v_fmamk_f16 v13, v25, 0x36a6, v17
	v_mul_f16_e32 v16, 0xb853, v34
	v_mul_f16_sdwa v24, v4, v19 dst_sel:DWORD dst_unused:UNUSED_PAD src0_sel:WORD_1 src1_sel:DWORD
	v_add_f16_e32 v21, v6, v2
	v_mul_f16_sdwa v40, v5, v20 dst_sel:DWORD dst_unused:UNUSED_PAD src0_sel:WORD_1 src1_sel:DWORD
	v_add_f16_e32 v11, v13, v11
	v_add_f16_e32 v44, v18, v28
	v_fmac_f16_e32 v24, v4, v3
	v_fmamk_f16 v13, v21, 0x3abb, v16
	v_fmac_f16_e32 v40, v5, v12
	v_mul_f16_sdwa v12, v5, v12 dst_sel:DWORD dst_unused:UNUSED_PAD src0_sel:WORD_1 src1_sel:DWORD
	v_mul_f16_sdwa v3, v4, v3 dst_sel:DWORD dst_unused:UNUSED_PAD src0_sel:WORD_1 src1_sel:DWORD
	v_sub_f16_e32 v47, v9, v22
	v_add_f16_e32 v11, v13, v11
	v_sub_f16_e32 v13, v27, v23
	v_sub_f16_e32 v46, v24, v40
	v_fma_f16 v5, v5, v20, -v12
	v_fma_f16 v3, v4, v19, -v3
	v_add_f16_e32 v12, v32, v31
	v_mul_f16_e32 v45, 0xbbeb, v13
	v_mul_f16_e32 v19, 0x3482, v47
	;; [unrolled: 1-line block ×3, first 2 shown]
	v_sub_f16_e32 v48, v10, v7
	v_add_f16_e32 v49, v5, v3
	v_fma_f16 v4, v44, 0xb08e, -v45
	v_fma_f16 v50, v12, 0xbbad, -v19
	v_add_f16_e32 v51, v39, v35
	v_mul_f16_e32 v52, 0x3b47, v48
	v_fmamk_f16 v53, v49, 0xb93d, v20
	v_add_f16_e32 v4, v0, v4
	v_add_f16_e32 v55, v42, v41
	v_mul_f16_e32 v58, 0x3beb, v1
	v_fma_f16 v54, v51, 0x36a6, -v52
	v_add_f16_e32 v11, v53, v11
	v_add_f16_e32 v4, v50, v4
	v_sub_f16_e32 v50, v2, v6
	v_mul_f16_e32 v53, 0xba0c, v8
	v_fma_f16 v30, v33, 0xb08e, -v30
	v_add_f16_e32 v60, v40, v24
	v_add_f16_e32 v4, v54, v4
	v_mul_f16_e32 v56, 0xb853, v50
	v_sub_f16_e32 v54, v3, v5
	v_fmamk_f16 v57, v33, 0xb93d, v53
	v_fma_f16 v53, v33, 0xb93d, -v53
	v_fmamk_f16 v62, v29, 0xb08e, v58
	v_fma_f16 v59, v55, 0x3abb, -v56
	v_mul_f16_e32 v61, 0xba0c, v54
	v_add_f16_e32 v57, v14, v57
	v_mul_f16_e32 v63, 0xb853, v43
	v_add_f16_e32 v53, v14, v53
	v_fma_f16 v58, v29, 0xb08e, -v58
	v_add_f16_e32 v30, v14, v30
	v_fma_f16 v26, v29, 0xbbad, -v26
	;; [unrolled: 2-line block ×3, first 2 shown]
	v_mul_f16_e32 v64, 0xba0c, v13
	v_add_f16_e32 v57, v62, v57
	v_fmamk_f16 v62, v25, 0x3abb, v63
	v_mul_f16_e32 v65, 0xb482, v34
	v_add_f16_e32 v53, v58, v53
	v_fma_f16 v58, v25, 0x3abb, -v63
	v_fmac_f16_e32 v45, 0xb08e, v44
	v_add_f16_e32 v26, v26, v30
	v_fma_f16 v17, v25, 0x36a6, -v17
	v_add_f16_e32 v4, v59, v4
	v_fma_f16 v59, v44, 0xb93d, -v64
	v_mul_f16_e32 v66, 0x3beb, v47
	v_add_f16_e32 v57, v62, v57
	v_fmamk_f16 v62, v21, 0xbbad, v65
	v_mul_f16_e32 v67, 0x3b47, v46
	v_fmac_f16_e32 v64, 0xb93d, v44
	v_add_f16_e32 v53, v58, v53
	v_fma_f16 v58, v21, 0xbbad, -v65
	v_add_f16_e32 v45, v0, v45
	v_fmac_f16_e32 v19, 0xbbad, v12
	v_add_f16_e32 v17, v17, v26
	v_fma_f16 v16, v21, 0x3abb, -v16
	v_mul_f16_e32 v26, 0x36a6, v33
	v_add_f16_e32 v59, v0, v59
	v_fma_f16 v68, v12, 0xb08e, -v66
	v_mul_f16_e32 v69, 0xb853, v48
	v_add_f16_e32 v57, v62, v57
	v_fmamk_f16 v62, v49, 0x36a6, v67
	v_mul_f16_e32 v70, 0xb482, v8
	v_add_f16_e32 v64, v0, v64
	v_fmac_f16_e32 v66, 0xb08e, v12
	v_add_f16_e32 v53, v58, v53
	v_fma_f16 v58, v49, 0x36a6, -v67
	v_add_f16_e32 v19, v19, v45
	v_fmac_f16_e32 v52, 0x36a6, v51
	v_add_f16_e32 v16, v16, v17
	v_fmamk_f16 v17, v8, 0x3b47, v26
	v_mul_f16_e32 v45, 0xb93d, v29
	v_add_f16_e32 v59, v68, v59
	v_fma_f16 v68, v51, 0x3abb, -v69
	v_mul_f16_e32 v71, 0xb482, v50
	v_add_f16_e32 v57, v62, v57
	v_fmamk_f16 v62, v33, 0xbbad, v70
	v_mul_f16_e32 v72, 0x3853, v1
	v_fma_f16 v70, v33, 0xbbad, -v70
	v_add_f16_e32 v64, v66, v64
	v_fmac_f16_e32 v69, 0x3abb, v51
	v_add_f16_e32 v53, v58, v53
	v_fma_f16 v20, v49, 0xb93d, -v20
	v_add_f16_e32 v19, v52, v19
	v_fmac_f16_e32 v56, 0x3abb, v55
	v_add_f16_e32 v17, v14, v17
	v_fmamk_f16 v52, v1, 0x3a0c, v45
	v_mul_f16_e32 v58, 0xbbad, v25
	v_add_f16_e32 v59, v68, v59
	v_fma_f16 v68, v55, 0xbbad, -v71
	v_fmamk_f16 v74, v29, 0x3abb, v72
	v_mul_f16_e32 v75, 0xba0c, v43
	v_add_f16_e32 v70, v14, v70
	v_fma_f16 v72, v29, 0x3abb, -v72
	v_add_f16_e32 v64, v69, v64
	v_fmac_f16_e32 v71, 0xbbad, v55
	v_add_f16_e32 v16, v20, v16
	v_add_f16_e32 v19, v56, v19
	v_mul_f16_e32 v20, 0xbb47, v13
	v_add_f16_e32 v17, v52, v17
	v_fmamk_f16 v52, v43, 0xb482, v58
	v_mul_f16_e32 v56, 0xb08e, v21
	v_mul_f16_e32 v77, 0x3b47, v34
	v_add_f16_e32 v70, v72, v70
	v_fma_f16 v72, v25, 0xb93d, -v75
	v_add_f16_e32 v30, v71, v64
	v_fmac_f16_e32 v61, 0xb93d, v60
	v_fmamk_f16 v64, v44, 0x36a6, v20
	v_mul_f16_e32 v65, 0xba0c, v47
	v_add_f16_e32 v17, v52, v17
	v_fmamk_f16 v52, v34, 0xbbeb, v56
	v_mul_f16_e32 v79, 0xbbeb, v46
	v_add_f16_e32 v70, v72, v70
	v_fma_f16 v72, v21, 0x36a6, -v77
	v_add_f16_e32 v19, v61, v19
	v_add_f16_e32 v61, v0, v64
	v_fmamk_f16 v64, v12, 0xb93d, v65
	v_mul_f16_e32 v66, 0x3482, v48
	v_add_f16_e32 v17, v52, v17
	v_mul_f16_e32 v33, 0x3abb, v33
	v_mul_f16_e32 v52, 0x3abb, v49
	v_add_f16_e32 v70, v72, v70
	v_fma_f16 v72, v49, 0xb08e, -v79
	v_add_f16_e32 v61, v64, v61
	v_fmamk_f16 v64, v51, 0xbbad, v66
	v_mul_f16_e32 v67, 0x3beb, v50
	v_fmamk_f16 v69, v8, 0x3853, v33
	v_mul_f16_e32 v29, 0x36a6, v29
	v_fmamk_f16 v71, v46, 0xb853, v52
	v_add_f16_e32 v28, v0, v28
	v_add_f16_e32 v70, v72, v70
	;; [unrolled: 1-line block ×3, first 2 shown]
	v_fmamk_f16 v64, v55, 0xb08e, v67
	v_add_f16_e32 v69, v14, v69
	v_fmamk_f16 v72, v1, 0x3b47, v29
	v_add_f16_e32 v17, v71, v17
	v_mul_f16_e32 v71, 0x3853, v54
	v_add_f16_e32 v27, v27, v14
	v_add_f16_e32 v28, v31, v28
	v_mul_f16_e32 v76, 0xb482, v13
	v_add_f16_e32 v61, v64, v61
	v_add_f16_e32 v64, v72, v69
	v_fmamk_f16 v72, v60, 0x3abb, v71
	v_mul_f16_e32 v13, 0xb853, v13
	v_add_f16_e32 v9, v9, v27
	v_add_f16_e32 v28, v35, v28
	v_mul_f16_e32 v73, 0x3b47, v54
	v_add_f16_e32 v27, v72, v61
	v_fmamk_f16 v61, v44, 0x3abb, v13
	v_add_f16_e32 v9, v10, v9
	v_mul_f16_e32 v10, 0xbb47, v47
	v_add_f16_e32 v28, v41, v28
	v_mul_f16_e32 v78, 0x3853, v47
	v_add_f16_e32 v47, v0, v61
	v_add_f16_e32 v2, v2, v9
	v_fmamk_f16 v9, v12, 0x36a6, v10
	v_mul_f16_e32 v41, 0xbbeb, v48
	v_add_f16_e32 v24, v24, v28
	v_add_f16_e32 v62, v14, v62
	;; [unrolled: 1-line block ×3, first 2 shown]
	v_fma_f16 v68, v60, 0x36a6, -v73
	v_add_f16_e32 v2, v3, v2
	v_add_f16_e32 v3, v9, v47
	v_fmamk_f16 v9, v51, 0xb08e, v41
	v_add_f16_e32 v24, v40, v24
	v_add_f16_e32 v62, v74, v62
	v_fmamk_f16 v74, v25, 0xb93d, v75
	v_add_f16_e32 v59, v68, v59
	v_fma_f16 v68, v44, 0xbbad, -v76
	v_add_f16_e32 v2, v5, v2
	v_fmac_f16_e32 v26, 0xbb47, v8
	v_add_f16_e32 v3, v9, v3
	v_mul_f16_e32 v5, 0xba0c, v50
	v_add_f16_e32 v9, v42, v24
	v_add_f16_e32 v62, v74, v62
	v_fmamk_f16 v74, v21, 0x36a6, v77
	v_add_f16_e32 v68, v0, v68
	v_fma_f16 v80, v12, 0x3abb, -v78
	v_mul_f16_e32 v81, 0xba0c, v48
	v_add_f16_e32 v2, v6, v2
	v_add_f16_e32 v6, v14, v26
	v_fmamk_f16 v24, v55, 0xb93d, v5
	v_mul_f16_e32 v26, 0xb482, v54
	v_add_f16_e32 v9, v39, v9
	v_add_f16_e32 v62, v74, v62
	v_fmamk_f16 v74, v49, 0xb08e, v79
	v_add_f16_e32 v68, v80, v68
	v_fma_f16 v80, v51, 0xb93d, -v81
	v_mul_f16_e32 v82, 0x3b47, v50
	v_add_f16_e32 v2, v7, v2
	v_add_f16_e32 v3, v24, v3
	v_fmamk_f16 v7, v60, 0xbbad, v26
	v_add_f16_e32 v9, v32, v9
	v_mul_f16_e32 v25, 0xb08e, v25
	v_add_f16_e32 v62, v74, v62
	v_add_f16_e32 v68, v80, v68
	v_fma_f16 v74, v55, 0x36a6, -v82
	v_mul_f16_e32 v80, 0xbbeb, v54
	v_fmac_f16_e32 v76, 0xbbad, v44
	v_add_f16_e32 v3, v7, v3
	v_add_f16_e32 v7, v18, v9
	v_fma_f16 v9, v44, 0x36a6, -v20
	v_fmac_f16_e32 v33, 0xb853, v8
	v_fma_f16 v8, v44, 0x3abb, -v13
	v_fmamk_f16 v69, v43, 0x3beb, v25
	v_mul_f16_e32 v21, 0xb93d, v21
	v_add_f16_e32 v68, v74, v68
	v_fma_f16 v74, v60, 0xb08e, -v80
	v_add_f16_e32 v75, v0, v76
	v_fmac_f16_e32 v78, 0x3abb, v12
	v_fmac_f16_e32 v45, 0xba0c, v1
	v_add_f16_e32 v9, v0, v9
	v_fma_f16 v13, v12, 0xb93d, -v65
	v_add_f16_e32 v14, v14, v33
	v_fmac_f16_e32 v29, 0xbb47, v1
	v_add_f16_e32 v0, v0, v8
	v_fma_f16 v1, v12, 0x36a6, -v10
	v_add_f16_e32 v64, v69, v64
	v_fmamk_f16 v69, v34, 0x3a0c, v21
	v_mul_f16_e32 v35, 0xbbad, v49
	v_add_f16_e32 v68, v74, v68
	v_add_f16_e32 v74, v78, v75
	v_fmac_f16_e32 v81, 0xb93d, v51
	v_add_f16_e32 v6, v45, v6
	v_fmac_f16_e32 v58, 0x3482, v43
	v_add_f16_e32 v8, v13, v9
	v_fma_f16 v9, v51, 0xbbad, -v66
	v_add_f16_e32 v10, v29, v14
	v_fmac_f16_e32 v25, 0xbbeb, v43
	v_add_f16_e32 v0, v1, v0
	v_fma_f16 v1, v51, 0xb08e, -v41
	v_add_f16_e32 v31, v69, v64
	v_fmamk_f16 v48, v46, 0x3482, v35
	v_add_f16_e32 v2, v22, v2
	v_add_f16_e32 v74, v81, v74
	v_fmac_f16_e32 v82, 0x36a6, v55
	v_add_f16_e32 v6, v58, v6
	v_fmac_f16_e32 v56, 0x3beb, v34
	v_add_f16_e32 v8, v9, v8
	v_fma_f16 v9, v55, 0xb08e, -v67
	v_add_f16_e32 v10, v25, v10
	v_fmac_f16_e32 v21, 0xba0c, v34
	v_add_f16_e32 v0, v1, v0
	v_fma_f16 v1, v55, 0xb93d, -v5
	v_add_f16_e32 v28, v48, v31
	v_add_f16_e32 v2, v23, v2
	;; [unrolled: 1-line block ×3, first 2 shown]
	v_fmac_f16_e32 v80, 0xb08e, v60
	v_fmac_f16_e32 v73, 0x36a6, v60
	v_add_f16_e32 v6, v56, v6
	v_fmac_f16_e32 v52, 0x3853, v46
	v_add_f16_e32 v5, v9, v8
	v_fma_f16 v8, v60, 0x3abb, -v71
	v_add_f16_e32 v9, v21, v10
	v_fmac_f16_e32 v35, 0xb482, v46
	v_add_f16_e32 v0, v1, v0
	v_fma_f16 v1, v60, 0xbbad, -v26
	v_pack_b32_f16 v2, v7, v2
	v_pack_b32_f16 v3, v3, v28
	v_add_f16_e32 v63, v80, v63
	v_add_f16_e32 v30, v73, v30
	;; [unrolled: 1-line block ×6, first 2 shown]
	ds_write2_b32 v37, v2, v3 offset1:136
	v_pack_b32_f16 v1, v27, v17
	v_pack_b32_f16 v2, v19, v16
	v_add_nc_u32_e32 v3, 0x400, v37
	v_pack_b32_f16 v8, v30, v53
	v_pack_b32_f16 v9, v63, v70
	v_add_nc_u32_e32 v10, 0x800, v37
	v_pack_b32_f16 v12, v68, v62
	v_pack_b32_f16 v13, v59, v57
	v_add_nc_u32_e32 v14, 0xc00, v37
	v_pack_b32_f16 v4, v4, v11
	v_pack_b32_f16 v5, v5, v6
	v_add_nc_u32_e32 v6, 0x1000, v37
	v_pack_b32_f16 v0, v0, v7
	ds_write2_b32 v3, v1, v2 offset0:16 offset1:152
	ds_write2_b32 v10, v8, v9 offset0:32 offset1:168
	;; [unrolled: 1-line block ×4, first 2 shown]
	ds_write_b32 v37, v0 offset:5440
.LBB0_21:
	s_or_b32 exec_lo, exec_lo, s1
	s_waitcnt lgkmcnt(0)
	s_barrier
	buffer_gl0_inv
	s_and_b32 exec_lo, exec_lo, vcc_lo
	s_cbranch_execz .LBB0_23
; %bb.22:
	global_load_dword v0, v37, s[12:13]
	ds_read_b32 v1, v37
	s_mov_b32 s8, 0xb8d015e7
	s_mov_b32 s9, 0x3f45e75b
	v_mad_u64_u32 v[6:7], null, s4, v38, 0
	s_mul_hi_u32 s3, s4, 0x160
	s_waitcnt lgkmcnt(0)
	v_lshrrev_b32_e32 v2, 16, v1
	s_waitcnt vmcnt(0)
	v_mul_f16_sdwa v3, v2, v0 dst_sel:DWORD dst_unused:UNUSED_PAD src0_sel:DWORD src1_sel:WORD_1
	v_mul_f16_sdwa v4, v1, v0 dst_sel:DWORD dst_unused:UNUSED_PAD src0_sel:DWORD src1_sel:WORD_1
	v_fmac_f16_e32 v3, v1, v0
	v_fma_f16 v0, v0, v2, -v4
	v_mad_u64_u32 v[4:5], null, s6, v15, 0
	s_mul_i32 s6, s4, 0x160
	v_cvt_f32_f16_e32 v1, v3
	v_cvt_f32_f16_e32 v2, v0
	v_cvt_f64_f32_e32 v[0:1], v1
	v_cvt_f64_f32_e32 v[2:3], v2
	v_mul_f64 v[0:1], v[0:1], s[8:9]
	v_mul_f64 v[2:3], v[2:3], s[8:9]
	v_and_or_b32 v0, 0x1ff, v1, v0
	v_and_or_b32 v2, 0x1ff, v3, v2
	v_lshrrev_b32_e32 v8, 8, v1
	v_bfe_u32 v10, v1, 20, 11
	v_lshrrev_b32_e32 v9, 8, v3
	v_cmp_ne_u32_e32 vcc_lo, 0, v0
	v_bfe_u32 v11, v3, 20, 11
	v_mov_b32_e32 v0, v7
	v_sub_nc_u32_e32 v13, 0x3f1, v10
	v_add_nc_u32_e32 v10, 0xfffffc10, v10
	v_cndmask_b32_e64 v12, 0, 1, vcc_lo
	v_cmp_ne_u32_e32 vcc_lo, 0, v2
	v_sub_nc_u32_e32 v14, 0x3f1, v11
	v_med3_i32 v13, v13, 0, 13
	v_add_nc_u32_e32 v11, 0xfffffc10, v11
	v_and_or_b32 v12, 0xffe, v8, v12
	v_cndmask_b32_e64 v2, 0, 1, vcc_lo
	v_mad_u64_u32 v[7:8], null, s7, v15, v[5:6]
	v_med3_i32 v14, v14, 0, 13
	v_or_b32_e32 v15, 0x1000, v12
	v_and_or_b32 v2, 0xffe, v9, v2
	v_mad_u64_u32 v[8:9], null, s5, v38, v[0:1]
	v_mov_b32_e32 v5, v7
	v_or_b32_e32 v16, 0x1000, v2
	v_lshrrev_b32_e32 v0, v13, v15
	v_mov_b32_e32 v7, v8
	v_lshrrev_b32_e32 v9, v14, v16
	v_lshlrev_b32_e32 v13, v13, v0
	v_lshlrev_b64 v[4:5], 2, v[4:5]
	v_lshlrev_b32_e32 v8, v14, v9
	v_cmp_ne_u32_e32 vcc_lo, v13, v15
	v_lshl_or_b32 v14, v10, 12, v12
	v_cndmask_b32_e64 v13, 0, 1, vcc_lo
	v_cmp_ne_u32_e32 vcc_lo, v8, v16
	v_or_b32_e32 v0, v0, v13
	v_cndmask_b32_e64 v8, 0, 1, vcc_lo
	v_cmp_gt_i32_e32 vcc_lo, 1, v10
	v_lshl_or_b32 v13, v11, 12, v2
	v_or_b32_e32 v8, v9, v8
	v_cndmask_b32_e32 v0, v14, v0, vcc_lo
	v_cmp_gt_i32_e32 vcc_lo, 1, v11
	v_lshrrev_b32_e32 v9, 16, v1
	v_cndmask_b32_e32 v1, v13, v8, vcc_lo
	v_cmp_ne_u32_e32 vcc_lo, 0, v12
	v_and_b32_e32 v12, 7, v0
	v_lshrrev_b32_e32 v0, 2, v0
	v_and_b32_e32 v13, 7, v1
	v_cndmask_b32_e64 v8, 0, 1, vcc_lo
	v_cmp_ne_u32_e32 vcc_lo, 0, v2
	v_cmp_eq_u32_e64 s0, 3, v12
	v_lshrrev_b32_e32 v1, 2, v1
	v_cmp_lt_i32_e64 s1, 5, v13
	v_cmp_eq_u32_e64 s2, 3, v13
	v_cndmask_b32_e64 v2, 0, 1, vcc_lo
	v_cmp_lt_i32_e32 vcc_lo, 5, v12
	v_lshl_or_b32 v8, v8, 9, 0x7c00
	v_lshl_or_b32 v2, v2, 9, 0x7c00
	s_or_b32 vcc_lo, s0, vcc_lo
	v_add_co_ci_u32_e32 v0, vcc_lo, 0, v0, vcc_lo
	s_or_b32 vcc_lo, s2, s1
	v_add_co_ci_u32_e32 v1, vcc_lo, 0, v1, vcc_lo
	v_cmp_gt_i32_e32 vcc_lo, 31, v10
	v_cndmask_b32_e32 v0, 0x7c00, v0, vcc_lo
	v_cmp_gt_i32_e32 vcc_lo, 31, v11
	v_cndmask_b32_e32 v12, 0x7c00, v1, vcc_lo
	v_cmp_eq_u32_e32 vcc_lo, 0x40f, v10
	v_cndmask_b32_e32 v8, v0, v8, vcc_lo
	v_cmp_eq_u32_e32 vcc_lo, 0x40f, v11
	v_lshlrev_b64 v[0:1], 2, v[6:7]
	v_lshrrev_b32_e32 v6, 16, v3
	v_and_or_b32 v8, 0x8000, v9, v8
	v_cndmask_b32_e32 v7, v12, v2, vcc_lo
	v_add_co_u32 v2, vcc_lo, s14, v4
	v_add_co_ci_u32_e32 v3, vcc_lo, s15, v5, vcc_lo
	v_and_or_b32 v4, 0x8000, v6, v7
	v_and_b32_e32 v5, 0xffff, v8
	v_add_co_u32 v0, vcc_lo, v2, v0
	v_add_co_ci_u32_e32 v1, vcc_lo, v3, v1, vcc_lo
	v_lshl_or_b32 v4, v4, 16, v5
	global_store_dword v[0:1], v4, off
	global_load_dword v6, v37, s[12:13] offset:352
	ds_read2_b32 v[4:5], v37 offset0:88 offset1:176
	s_waitcnt lgkmcnt(0)
	v_lshrrev_b32_e32 v7, 16, v4
	s_waitcnt vmcnt(0)
	v_mul_f16_sdwa v8, v7, v6 dst_sel:DWORD dst_unused:UNUSED_PAD src0_sel:DWORD src1_sel:WORD_1
	v_mul_f16_sdwa v9, v4, v6 dst_sel:DWORD dst_unused:UNUSED_PAD src0_sel:DWORD src1_sel:WORD_1
	v_fmac_f16_e32 v8, v4, v6
	v_fma_f16 v4, v6, v7, -v9
	v_cvt_f32_f16_e32 v6, v8
	v_cvt_f32_f16_e32 v4, v4
	v_cvt_f64_f32_e32 v[6:7], v6
	v_cvt_f64_f32_e32 v[8:9], v4
	v_mul_f64 v[6:7], v[6:7], s[8:9]
	v_mul_f64 v[8:9], v[8:9], s[8:9]
	v_and_or_b32 v4, 0x1ff, v7, v6
	v_and_or_b32 v8, 0x1ff, v9, v8
	v_lshrrev_b32_e32 v6, 8, v7
	v_bfe_u32 v10, v7, 20, 11
	v_lshrrev_b32_e32 v11, 8, v9
	v_cmp_ne_u32_e32 vcc_lo, 0, v4
	v_bfe_u32 v12, v9, 20, 11
	v_lshrrev_b32_e32 v7, 16, v7
	v_sub_nc_u32_e32 v13, 0x3f1, v10
	v_add_nc_u32_e32 v10, 0xfffffc10, v10
	v_cndmask_b32_e64 v4, 0, 1, vcc_lo
	v_cmp_ne_u32_e32 vcc_lo, 0, v8
	v_lshrrev_b32_e32 v9, 16, v9
	v_and_or_b32 v4, 0xffe, v6, v4
	v_cndmask_b32_e64 v8, 0, 1, vcc_lo
	v_sub_nc_u32_e32 v6, 0x3f1, v12
	v_add_nc_u32_e32 v12, 0xfffffc10, v12
	v_and_or_b32 v8, 0xffe, v11, v8
	v_med3_i32 v11, v13, 0, 13
	v_or_b32_e32 v13, 0x1000, v4
	v_med3_i32 v6, v6, 0, 13
	v_or_b32_e32 v14, 0x1000, v8
	v_lshrrev_b32_e32 v15, v11, v13
	v_lshrrev_b32_e32 v16, v6, v14
	v_lshlrev_b32_e32 v11, v11, v15
	v_lshlrev_b32_e32 v6, v6, v16
	v_cmp_ne_u32_e32 vcc_lo, v11, v13
	v_lshl_or_b32 v13, v10, 12, v4
	v_cndmask_b32_e64 v11, 0, 1, vcc_lo
	v_cmp_ne_u32_e32 vcc_lo, v6, v14
	v_lshl_or_b32 v14, v12, 12, v8
	v_or_b32_e32 v11, v15, v11
	v_cndmask_b32_e64 v6, 0, 1, vcc_lo
	v_cmp_gt_i32_e32 vcc_lo, 1, v10
	v_or_b32_e32 v6, v16, v6
	v_cndmask_b32_e32 v11, v13, v11, vcc_lo
	v_cmp_gt_i32_e32 vcc_lo, 1, v12
	v_and_b32_e32 v13, 7, v11
	v_cndmask_b32_e32 v6, v14, v6, vcc_lo
	v_cmp_ne_u32_e32 vcc_lo, 0, v4
	v_lshrrev_b32_e32 v11, 2, v11
	v_cmp_eq_u32_e64 s0, 3, v13
	v_and_b32_e32 v14, 7, v6
	v_cndmask_b32_e64 v4, 0, 1, vcc_lo
	v_cmp_ne_u32_e32 vcc_lo, 0, v8
	v_lshrrev_b32_e32 v6, 2, v6
	v_cmp_lt_i32_e64 s1, 5, v14
	v_cmp_eq_u32_e64 s2, 3, v14
	v_cndmask_b32_e64 v8, 0, 1, vcc_lo
	v_cmp_lt_i32_e32 vcc_lo, 5, v13
	v_lshl_or_b32 v4, v4, 9, 0x7c00
	v_lshl_or_b32 v8, v8, 9, 0x7c00
	s_or_b32 vcc_lo, s0, vcc_lo
	s_mul_i32 s0, s5, 0x160
	v_add_co_ci_u32_e32 v11, vcc_lo, 0, v11, vcc_lo
	s_or_b32 vcc_lo, s2, s1
	s_add_i32 s3, s3, s0
	v_add_co_ci_u32_e32 v6, vcc_lo, 0, v6, vcc_lo
	v_cmp_gt_i32_e32 vcc_lo, 31, v10
	v_cndmask_b32_e32 v11, 0x7c00, v11, vcc_lo
	v_cmp_gt_i32_e32 vcc_lo, 31, v12
	v_cndmask_b32_e32 v6, 0x7c00, v6, vcc_lo
	v_cmp_eq_u32_e32 vcc_lo, 0x40f, v10
	v_cndmask_b32_e32 v4, v11, v4, vcc_lo
	v_cmp_eq_u32_e32 vcc_lo, 0x40f, v12
	v_and_or_b32 v4, 0x8000, v7, v4
	v_cndmask_b32_e32 v6, v6, v8, vcc_lo
	v_add_co_u32 v0, vcc_lo, v0, s6
	v_add_co_ci_u32_e32 v1, vcc_lo, s3, v1, vcc_lo
	v_and_or_b32 v6, 0x8000, v9, v6
	v_and_b32_e32 v4, 0xffff, v4
	v_lshl_or_b32 v4, v6, 16, v4
	v_lshrrev_b32_e32 v6, 16, v5
	global_store_dword v[0:1], v4, off
	global_load_dword v4, v37, s[12:13] offset:704
	s_waitcnt vmcnt(0)
	v_mul_f16_sdwa v7, v6, v4 dst_sel:DWORD dst_unused:UNUSED_PAD src0_sel:DWORD src1_sel:WORD_1
	v_mul_f16_sdwa v8, v5, v4 dst_sel:DWORD dst_unused:UNUSED_PAD src0_sel:DWORD src1_sel:WORD_1
	v_fmac_f16_e32 v7, v5, v4
	v_fma_f16 v4, v4, v6, -v8
	v_cvt_f32_f16_e32 v5, v7
	v_cvt_f32_f16_e32 v6, v4
	v_cvt_f64_f32_e32 v[4:5], v5
	v_cvt_f64_f32_e32 v[6:7], v6
	v_mul_f64 v[4:5], v[4:5], s[8:9]
	v_mul_f64 v[6:7], v[6:7], s[8:9]
	v_and_or_b32 v4, 0x1ff, v5, v4
	v_and_or_b32 v6, 0x1ff, v7, v6
	v_lshrrev_b32_e32 v8, 8, v5
	v_bfe_u32 v9, v5, 20, 11
	v_lshrrev_b32_e32 v10, 8, v7
	v_cmp_ne_u32_e32 vcc_lo, 0, v4
	v_bfe_u32 v11, v7, 20, 11
	v_lshrrev_b32_e32 v5, 16, v5
	v_sub_nc_u32_e32 v12, 0x3f1, v9
	v_add_nc_u32_e32 v9, 0xfffffc10, v9
	v_cndmask_b32_e64 v4, 0, 1, vcc_lo
	v_cmp_ne_u32_e32 vcc_lo, 0, v6
	v_lshrrev_b32_e32 v7, 16, v7
	v_and_or_b32 v4, 0xffe, v8, v4
	v_cndmask_b32_e64 v6, 0, 1, vcc_lo
	v_sub_nc_u32_e32 v8, 0x3f1, v11
	v_add_nc_u32_e32 v11, 0xfffffc10, v11
	v_and_or_b32 v6, 0xffe, v10, v6
	v_med3_i32 v10, v12, 0, 13
	v_or_b32_e32 v12, 0x1000, v4
	v_med3_i32 v8, v8, 0, 13
	v_or_b32_e32 v13, 0x1000, v6
	v_lshrrev_b32_e32 v14, v10, v12
	v_lshrrev_b32_e32 v15, v8, v13
	v_lshlrev_b32_e32 v10, v10, v14
	v_lshlrev_b32_e32 v8, v8, v15
	v_cmp_ne_u32_e32 vcc_lo, v10, v12
	v_lshl_or_b32 v12, v9, 12, v4
	v_cndmask_b32_e64 v10, 0, 1, vcc_lo
	v_cmp_ne_u32_e32 vcc_lo, v8, v13
	v_lshl_or_b32 v13, v11, 12, v6
	v_or_b32_e32 v10, v14, v10
	v_cndmask_b32_e64 v8, 0, 1, vcc_lo
	v_cmp_gt_i32_e32 vcc_lo, 1, v9
	v_or_b32_e32 v8, v15, v8
	v_cndmask_b32_e32 v10, v12, v10, vcc_lo
	v_cmp_gt_i32_e32 vcc_lo, 1, v11
	v_and_b32_e32 v12, 7, v10
	v_cndmask_b32_e32 v8, v13, v8, vcc_lo
	v_cmp_ne_u32_e32 vcc_lo, 0, v4
	v_lshrrev_b32_e32 v10, 2, v10
	v_cmp_eq_u32_e64 s0, 3, v12
	v_and_b32_e32 v13, 7, v8
	v_cndmask_b32_e64 v4, 0, 1, vcc_lo
	v_cmp_ne_u32_e32 vcc_lo, 0, v6
	v_lshrrev_b32_e32 v8, 2, v8
	v_cmp_lt_i32_e64 s1, 5, v13
	v_cmp_eq_u32_e64 s2, 3, v13
	v_cndmask_b32_e64 v6, 0, 1, vcc_lo
	v_cmp_lt_i32_e32 vcc_lo, 5, v12
	v_lshl_or_b32 v4, v4, 9, 0x7c00
	v_lshl_or_b32 v6, v6, 9, 0x7c00
	s_or_b32 vcc_lo, s0, vcc_lo
	v_add_co_ci_u32_e32 v10, vcc_lo, 0, v10, vcc_lo
	s_or_b32 vcc_lo, s2, s1
	v_add_co_ci_u32_e32 v8, vcc_lo, 0, v8, vcc_lo
	v_cmp_gt_i32_e32 vcc_lo, 31, v9
	v_cndmask_b32_e32 v10, 0x7c00, v10, vcc_lo
	v_cmp_gt_i32_e32 vcc_lo, 31, v11
	v_cndmask_b32_e32 v8, 0x7c00, v8, vcc_lo
	v_cmp_eq_u32_e32 vcc_lo, 0x40f, v9
	v_cndmask_b32_e32 v4, v10, v4, vcc_lo
	v_cmp_eq_u32_e32 vcc_lo, 0x40f, v11
	v_and_or_b32 v4, 0x8000, v5, v4
	v_cndmask_b32_e32 v6, v8, v6, vcc_lo
	v_add_co_u32 v0, vcc_lo, v0, s6
	v_add_co_ci_u32_e32 v1, vcc_lo, s3, v1, vcc_lo
	v_and_or_b32 v5, 0x8000, v7, v6
	v_and_b32_e32 v4, 0xffff, v4
	v_lshl_or_b32 v4, v5, 16, v4
	global_store_dword v[0:1], v4, off
	global_load_dword v6, v37, s[12:13] offset:1056
	v_add_nc_u32_e32 v4, 0x400, v37
	ds_read2_b32 v[4:5], v4 offset0:8 offset1:96
	s_waitcnt lgkmcnt(0)
	v_lshrrev_b32_e32 v7, 16, v4
	s_waitcnt vmcnt(0)
	v_mul_f16_sdwa v8, v7, v6 dst_sel:DWORD dst_unused:UNUSED_PAD src0_sel:DWORD src1_sel:WORD_1
	v_mul_f16_sdwa v9, v4, v6 dst_sel:DWORD dst_unused:UNUSED_PAD src0_sel:DWORD src1_sel:WORD_1
	v_fmac_f16_e32 v8, v4, v6
	v_fma_f16 v4, v6, v7, -v9
	v_cvt_f32_f16_e32 v6, v8
	v_cvt_f32_f16_e32 v4, v4
	v_cvt_f64_f32_e32 v[6:7], v6
	v_cvt_f64_f32_e32 v[8:9], v4
	v_mul_f64 v[6:7], v[6:7], s[8:9]
	v_mul_f64 v[8:9], v[8:9], s[8:9]
	v_and_or_b32 v4, 0x1ff, v7, v6
	v_and_or_b32 v8, 0x1ff, v9, v8
	v_lshrrev_b32_e32 v6, 8, v7
	v_bfe_u32 v10, v7, 20, 11
	v_lshrrev_b32_e32 v11, 8, v9
	v_cmp_ne_u32_e32 vcc_lo, 0, v4
	v_bfe_u32 v12, v9, 20, 11
	v_lshrrev_b32_e32 v7, 16, v7
	v_sub_nc_u32_e32 v13, 0x3f1, v10
	v_add_nc_u32_e32 v10, 0xfffffc10, v10
	v_cndmask_b32_e64 v4, 0, 1, vcc_lo
	v_cmp_ne_u32_e32 vcc_lo, 0, v8
	v_lshrrev_b32_e32 v9, 16, v9
	v_and_or_b32 v4, 0xffe, v6, v4
	v_cndmask_b32_e64 v8, 0, 1, vcc_lo
	v_sub_nc_u32_e32 v6, 0x3f1, v12
	v_add_nc_u32_e32 v12, 0xfffffc10, v12
	v_and_or_b32 v8, 0xffe, v11, v8
	v_med3_i32 v11, v13, 0, 13
	v_or_b32_e32 v13, 0x1000, v4
	v_med3_i32 v6, v6, 0, 13
	v_or_b32_e32 v14, 0x1000, v8
	v_lshrrev_b32_e32 v15, v11, v13
	v_lshrrev_b32_e32 v16, v6, v14
	v_lshlrev_b32_e32 v11, v11, v15
	v_lshlrev_b32_e32 v6, v6, v16
	v_cmp_ne_u32_e32 vcc_lo, v11, v13
	v_lshl_or_b32 v13, v10, 12, v4
	v_cndmask_b32_e64 v11, 0, 1, vcc_lo
	v_cmp_ne_u32_e32 vcc_lo, v6, v14
	v_lshl_or_b32 v14, v12, 12, v8
	v_or_b32_e32 v11, v15, v11
	v_cndmask_b32_e64 v6, 0, 1, vcc_lo
	v_cmp_gt_i32_e32 vcc_lo, 1, v10
	v_or_b32_e32 v6, v16, v6
	v_cndmask_b32_e32 v11, v13, v11, vcc_lo
	v_cmp_gt_i32_e32 vcc_lo, 1, v12
	v_and_b32_e32 v13, 7, v11
	v_cndmask_b32_e32 v6, v14, v6, vcc_lo
	v_cmp_ne_u32_e32 vcc_lo, 0, v4
	v_lshrrev_b32_e32 v11, 2, v11
	v_cmp_eq_u32_e64 s0, 3, v13
	v_and_b32_e32 v14, 7, v6
	v_cndmask_b32_e64 v4, 0, 1, vcc_lo
	v_cmp_ne_u32_e32 vcc_lo, 0, v8
	v_lshrrev_b32_e32 v6, 2, v6
	v_cmp_lt_i32_e64 s1, 5, v14
	v_cmp_eq_u32_e64 s2, 3, v14
	v_cndmask_b32_e64 v8, 0, 1, vcc_lo
	v_cmp_lt_i32_e32 vcc_lo, 5, v13
	v_lshl_or_b32 v4, v4, 9, 0x7c00
	v_lshl_or_b32 v8, v8, 9, 0x7c00
	s_or_b32 vcc_lo, s0, vcc_lo
	v_add_co_ci_u32_e32 v11, vcc_lo, 0, v11, vcc_lo
	s_or_b32 vcc_lo, s2, s1
	v_add_co_ci_u32_e32 v6, vcc_lo, 0, v6, vcc_lo
	v_cmp_gt_i32_e32 vcc_lo, 31, v10
	v_cndmask_b32_e32 v11, 0x7c00, v11, vcc_lo
	v_cmp_gt_i32_e32 vcc_lo, 31, v12
	v_cndmask_b32_e32 v6, 0x7c00, v6, vcc_lo
	v_cmp_eq_u32_e32 vcc_lo, 0x40f, v10
	v_cndmask_b32_e32 v4, v11, v4, vcc_lo
	v_cmp_eq_u32_e32 vcc_lo, 0x40f, v12
	v_and_or_b32 v4, 0x8000, v7, v4
	v_cndmask_b32_e32 v6, v6, v8, vcc_lo
	v_add_co_u32 v0, vcc_lo, v0, s6
	v_add_co_ci_u32_e32 v1, vcc_lo, s3, v1, vcc_lo
	v_and_or_b32 v6, 0x8000, v9, v6
	v_and_b32_e32 v4, 0xffff, v4
	v_lshl_or_b32 v4, v6, 16, v4
	v_lshrrev_b32_e32 v6, 16, v5
	global_store_dword v[0:1], v4, off
	global_load_dword v4, v37, s[12:13] offset:1408
	s_waitcnt vmcnt(0)
	v_mul_f16_sdwa v7, v6, v4 dst_sel:DWORD dst_unused:UNUSED_PAD src0_sel:DWORD src1_sel:WORD_1
	v_mul_f16_sdwa v8, v5, v4 dst_sel:DWORD dst_unused:UNUSED_PAD src0_sel:DWORD src1_sel:WORD_1
	v_fmac_f16_e32 v7, v5, v4
	v_fma_f16 v4, v4, v6, -v8
	v_cvt_f32_f16_e32 v5, v7
	v_cvt_f32_f16_e32 v6, v4
	v_cvt_f64_f32_e32 v[4:5], v5
	v_cvt_f64_f32_e32 v[6:7], v6
	v_mul_f64 v[4:5], v[4:5], s[8:9]
	v_mul_f64 v[6:7], v[6:7], s[8:9]
	v_and_or_b32 v4, 0x1ff, v5, v4
	v_and_or_b32 v6, 0x1ff, v7, v6
	v_lshrrev_b32_e32 v8, 8, v5
	v_bfe_u32 v9, v5, 20, 11
	v_lshrrev_b32_e32 v10, 8, v7
	v_cmp_ne_u32_e32 vcc_lo, 0, v4
	v_bfe_u32 v11, v7, 20, 11
	v_lshrrev_b32_e32 v5, 16, v5
	v_sub_nc_u32_e32 v12, 0x3f1, v9
	v_add_nc_u32_e32 v9, 0xfffffc10, v9
	v_cndmask_b32_e64 v4, 0, 1, vcc_lo
	v_cmp_ne_u32_e32 vcc_lo, 0, v6
	v_lshrrev_b32_e32 v7, 16, v7
	v_and_or_b32 v4, 0xffe, v8, v4
	v_cndmask_b32_e64 v6, 0, 1, vcc_lo
	v_sub_nc_u32_e32 v8, 0x3f1, v11
	v_add_nc_u32_e32 v11, 0xfffffc10, v11
	v_and_or_b32 v6, 0xffe, v10, v6
	v_med3_i32 v10, v12, 0, 13
	v_or_b32_e32 v12, 0x1000, v4
	v_med3_i32 v8, v8, 0, 13
	v_or_b32_e32 v13, 0x1000, v6
	v_lshrrev_b32_e32 v14, v10, v12
	v_lshrrev_b32_e32 v15, v8, v13
	v_lshlrev_b32_e32 v10, v10, v14
	v_lshlrev_b32_e32 v8, v8, v15
	v_cmp_ne_u32_e32 vcc_lo, v10, v12
	v_lshl_or_b32 v12, v9, 12, v4
	v_cndmask_b32_e64 v10, 0, 1, vcc_lo
	v_cmp_ne_u32_e32 vcc_lo, v8, v13
	v_lshl_or_b32 v13, v11, 12, v6
	v_or_b32_e32 v10, v14, v10
	v_cndmask_b32_e64 v8, 0, 1, vcc_lo
	v_cmp_gt_i32_e32 vcc_lo, 1, v9
	v_or_b32_e32 v8, v15, v8
	v_cndmask_b32_e32 v10, v12, v10, vcc_lo
	v_cmp_gt_i32_e32 vcc_lo, 1, v11
	v_and_b32_e32 v12, 7, v10
	v_cndmask_b32_e32 v8, v13, v8, vcc_lo
	v_cmp_ne_u32_e32 vcc_lo, 0, v4
	v_lshrrev_b32_e32 v10, 2, v10
	v_cmp_eq_u32_e64 s0, 3, v12
	v_and_b32_e32 v13, 7, v8
	v_cndmask_b32_e64 v4, 0, 1, vcc_lo
	v_cmp_ne_u32_e32 vcc_lo, 0, v6
	v_lshrrev_b32_e32 v8, 2, v8
	v_cmp_lt_i32_e64 s1, 5, v13
	v_cmp_eq_u32_e64 s2, 3, v13
	v_cndmask_b32_e64 v6, 0, 1, vcc_lo
	v_cmp_lt_i32_e32 vcc_lo, 5, v12
	v_lshl_or_b32 v4, v4, 9, 0x7c00
	v_lshl_or_b32 v6, v6, 9, 0x7c00
	s_or_b32 vcc_lo, s0, vcc_lo
	v_add_co_ci_u32_e32 v10, vcc_lo, 0, v10, vcc_lo
	s_or_b32 vcc_lo, s2, s1
	v_add_co_ci_u32_e32 v8, vcc_lo, 0, v8, vcc_lo
	v_cmp_gt_i32_e32 vcc_lo, 31, v9
	v_cndmask_b32_e32 v10, 0x7c00, v10, vcc_lo
	v_cmp_gt_i32_e32 vcc_lo, 31, v11
	v_cndmask_b32_e32 v8, 0x7c00, v8, vcc_lo
	v_cmp_eq_u32_e32 vcc_lo, 0x40f, v9
	v_cndmask_b32_e32 v4, v10, v4, vcc_lo
	v_cmp_eq_u32_e32 vcc_lo, 0x40f, v11
	v_and_or_b32 v4, 0x8000, v5, v4
	v_cndmask_b32_e32 v6, v8, v6, vcc_lo
	v_add_co_u32 v0, vcc_lo, v0, s6
	v_add_co_ci_u32_e32 v1, vcc_lo, s3, v1, vcc_lo
	v_and_or_b32 v5, 0x8000, v7, v6
	v_and_b32_e32 v4, 0xffff, v4
	v_lshl_or_b32 v4, v5, 16, v4
	v_add_nc_u32_e32 v5, 0x600, v37
	global_store_dword v[0:1], v4, off
	global_load_dword v4, v37, s[12:13] offset:1760
	ds_read2_b32 v[5:6], v5 offset0:56 offset1:144
	s_waitcnt lgkmcnt(0)
	v_lshrrev_b32_e32 v7, 16, v5
	s_waitcnt vmcnt(0)
	v_mul_f16_sdwa v8, v7, v4 dst_sel:DWORD dst_unused:UNUSED_PAD src0_sel:DWORD src1_sel:WORD_1
	v_mul_f16_sdwa v9, v5, v4 dst_sel:DWORD dst_unused:UNUSED_PAD src0_sel:DWORD src1_sel:WORD_1
	v_fmac_f16_e32 v8, v5, v4
	v_fma_f16 v4, v4, v7, -v9
	v_cvt_f32_f16_e32 v5, v8
	v_cvt_f32_f16_e32 v7, v4
	v_cvt_f64_f32_e32 v[4:5], v5
	v_cvt_f64_f32_e32 v[7:8], v7
	v_mul_f64 v[4:5], v[4:5], s[8:9]
	v_mul_f64 v[7:8], v[7:8], s[8:9]
	v_and_or_b32 v4, 0x1ff, v5, v4
	v_and_or_b32 v7, 0x1ff, v8, v7
	v_lshrrev_b32_e32 v9, 8, v5
	v_bfe_u32 v10, v5, 20, 11
	v_lshrrev_b32_e32 v11, 8, v8
	v_cmp_ne_u32_e32 vcc_lo, 0, v4
	v_bfe_u32 v12, v8, 20, 11
	v_lshrrev_b32_e32 v5, 16, v5
	v_sub_nc_u32_e32 v13, 0x3f1, v10
	v_add_nc_u32_e32 v10, 0xfffffc10, v10
	v_cndmask_b32_e64 v4, 0, 1, vcc_lo
	v_cmp_ne_u32_e32 vcc_lo, 0, v7
	v_lshrrev_b32_e32 v8, 16, v8
	v_and_or_b32 v4, 0xffe, v9, v4
	v_cndmask_b32_e64 v7, 0, 1, vcc_lo
	v_sub_nc_u32_e32 v9, 0x3f1, v12
	v_add_nc_u32_e32 v12, 0xfffffc10, v12
	v_and_or_b32 v7, 0xffe, v11, v7
	v_med3_i32 v11, v13, 0, 13
	v_or_b32_e32 v13, 0x1000, v4
	v_med3_i32 v9, v9, 0, 13
	v_or_b32_e32 v14, 0x1000, v7
	v_lshrrev_b32_e32 v15, v11, v13
	v_lshrrev_b32_e32 v16, v9, v14
	v_lshlrev_b32_e32 v11, v11, v15
	v_lshlrev_b32_e32 v9, v9, v16
	v_cmp_ne_u32_e32 vcc_lo, v11, v13
	v_lshl_or_b32 v13, v10, 12, v4
	v_cndmask_b32_e64 v11, 0, 1, vcc_lo
	v_cmp_ne_u32_e32 vcc_lo, v9, v14
	v_lshl_or_b32 v14, v12, 12, v7
	v_or_b32_e32 v11, v15, v11
	v_cndmask_b32_e64 v9, 0, 1, vcc_lo
	v_cmp_gt_i32_e32 vcc_lo, 1, v10
	v_or_b32_e32 v9, v16, v9
	v_cndmask_b32_e32 v11, v13, v11, vcc_lo
	v_cmp_gt_i32_e32 vcc_lo, 1, v12
	v_and_b32_e32 v13, 7, v11
	v_cndmask_b32_e32 v9, v14, v9, vcc_lo
	v_cmp_ne_u32_e32 vcc_lo, 0, v4
	v_lshrrev_b32_e32 v11, 2, v11
	v_cmp_eq_u32_e64 s0, 3, v13
	v_and_b32_e32 v14, 7, v9
	v_cndmask_b32_e64 v4, 0, 1, vcc_lo
	v_cmp_ne_u32_e32 vcc_lo, 0, v7
	v_lshrrev_b32_e32 v9, 2, v9
	v_cmp_lt_i32_e64 s1, 5, v14
	v_cmp_eq_u32_e64 s2, 3, v14
	v_cndmask_b32_e64 v7, 0, 1, vcc_lo
	v_cmp_lt_i32_e32 vcc_lo, 5, v13
	v_lshl_or_b32 v4, v4, 9, 0x7c00
	v_lshl_or_b32 v7, v7, 9, 0x7c00
	s_or_b32 vcc_lo, s0, vcc_lo
	v_add_co_ci_u32_e32 v11, vcc_lo, 0, v11, vcc_lo
	s_or_b32 vcc_lo, s2, s1
	v_add_co_ci_u32_e32 v9, vcc_lo, 0, v9, vcc_lo
	v_cmp_gt_i32_e32 vcc_lo, 31, v10
	v_cndmask_b32_e32 v11, 0x7c00, v11, vcc_lo
	v_cmp_gt_i32_e32 vcc_lo, 31, v12
	v_cndmask_b32_e32 v9, 0x7c00, v9, vcc_lo
	v_cmp_eq_u32_e32 vcc_lo, 0x40f, v10
	v_cndmask_b32_e32 v4, v11, v4, vcc_lo
	v_cmp_eq_u32_e32 vcc_lo, 0x40f, v12
	v_cndmask_b32_e32 v7, v9, v7, vcc_lo
	v_and_or_b32 v9, 0x8000, v5, v4
	v_add_co_u32 v4, s0, s12, v37
	v_add_co_ci_u32_e64 v5, null, s13, 0, s0
	v_and_or_b32 v10, 0x8000, v8, v7
	v_and_b32_e32 v9, 0xffff, v9
	v_add_co_u32 v7, vcc_lo, v0, s6
	v_add_co_ci_u32_e32 v8, vcc_lo, s3, v1, vcc_lo
	v_add_co_u32 v0, vcc_lo, 0x800, v4
	v_lshl_or_b32 v9, v10, 16, v9
	v_add_co_ci_u32_e32 v1, vcc_lo, 0, v5, vcc_lo
	v_lshrrev_b32_e32 v10, 16, v6
	global_store_dword v[7:8], v9, off
	global_load_dword v9, v[0:1], off offset:64
	s_waitcnt vmcnt(0)
	v_mul_f16_sdwa v11, v10, v9 dst_sel:DWORD dst_unused:UNUSED_PAD src0_sel:DWORD src1_sel:WORD_1
	v_mul_f16_sdwa v12, v6, v9 dst_sel:DWORD dst_unused:UNUSED_PAD src0_sel:DWORD src1_sel:WORD_1
	v_fmac_f16_e32 v11, v6, v9
	v_fma_f16 v6, v9, v10, -v12
	v_cvt_f32_f16_e32 v9, v11
	v_cvt_f32_f16_e32 v6, v6
	v_cvt_f64_f32_e32 v[9:10], v9
	v_cvt_f64_f32_e32 v[11:12], v6
	v_mul_f64 v[9:10], v[9:10], s[8:9]
	v_mul_f64 v[11:12], v[11:12], s[8:9]
	v_and_or_b32 v6, 0x1ff, v10, v9
	v_and_or_b32 v11, 0x1ff, v12, v11
	v_lshrrev_b32_e32 v9, 8, v10
	v_bfe_u32 v13, v10, 20, 11
	v_lshrrev_b32_e32 v14, 8, v12
	v_cmp_ne_u32_e32 vcc_lo, 0, v6
	v_bfe_u32 v15, v12, 20, 11
	v_lshrrev_b32_e32 v10, 16, v10
	v_sub_nc_u32_e32 v16, 0x3f1, v13
	v_add_nc_u32_e32 v13, 0xfffffc10, v13
	v_cndmask_b32_e64 v6, 0, 1, vcc_lo
	v_cmp_ne_u32_e32 vcc_lo, 0, v11
	v_lshrrev_b32_e32 v12, 16, v12
	v_and_or_b32 v6, 0xffe, v9, v6
	v_cndmask_b32_e64 v11, 0, 1, vcc_lo
	v_sub_nc_u32_e32 v9, 0x3f1, v15
	v_add_nc_u32_e32 v15, 0xfffffc10, v15
	v_and_or_b32 v11, 0xffe, v14, v11
	v_med3_i32 v14, v16, 0, 13
	v_or_b32_e32 v16, 0x1000, v6
	v_med3_i32 v9, v9, 0, 13
	v_or_b32_e32 v17, 0x1000, v11
	v_lshrrev_b32_e32 v18, v14, v16
	v_lshrrev_b32_e32 v19, v9, v17
	v_lshlrev_b32_e32 v14, v14, v18
	v_lshlrev_b32_e32 v9, v9, v19
	v_cmp_ne_u32_e32 vcc_lo, v14, v16
	v_lshl_or_b32 v16, v13, 12, v6
	v_cndmask_b32_e64 v14, 0, 1, vcc_lo
	v_cmp_ne_u32_e32 vcc_lo, v9, v17
	v_lshl_or_b32 v17, v15, 12, v11
	v_or_b32_e32 v14, v18, v14
	v_cndmask_b32_e64 v9, 0, 1, vcc_lo
	v_cmp_gt_i32_e32 vcc_lo, 1, v13
	v_or_b32_e32 v9, v19, v9
	v_cndmask_b32_e32 v14, v16, v14, vcc_lo
	v_cmp_gt_i32_e32 vcc_lo, 1, v15
	v_and_b32_e32 v16, 7, v14
	v_cndmask_b32_e32 v9, v17, v9, vcc_lo
	v_cmp_ne_u32_e32 vcc_lo, 0, v6
	v_lshrrev_b32_e32 v14, 2, v14
	v_cmp_eq_u32_e64 s0, 3, v16
	v_and_b32_e32 v17, 7, v9
	v_cndmask_b32_e64 v6, 0, 1, vcc_lo
	v_cmp_ne_u32_e32 vcc_lo, 0, v11
	v_lshrrev_b32_e32 v9, 2, v9
	v_cmp_lt_i32_e64 s1, 5, v17
	v_cmp_eq_u32_e64 s2, 3, v17
	v_cndmask_b32_e64 v11, 0, 1, vcc_lo
	v_cmp_lt_i32_e32 vcc_lo, 5, v16
	v_lshl_or_b32 v6, v6, 9, 0x7c00
	v_lshl_or_b32 v11, v11, 9, 0x7c00
	s_or_b32 vcc_lo, s0, vcc_lo
	v_add_co_ci_u32_e32 v14, vcc_lo, 0, v14, vcc_lo
	s_or_b32 vcc_lo, s2, s1
	v_add_co_ci_u32_e32 v9, vcc_lo, 0, v9, vcc_lo
	v_cmp_gt_i32_e32 vcc_lo, 31, v13
	v_cndmask_b32_e32 v14, 0x7c00, v14, vcc_lo
	v_cmp_gt_i32_e32 vcc_lo, 31, v15
	v_cndmask_b32_e32 v9, 0x7c00, v9, vcc_lo
	v_cmp_eq_u32_e32 vcc_lo, 0x40f, v13
	v_cndmask_b32_e32 v6, v14, v6, vcc_lo
	v_cmp_eq_u32_e32 vcc_lo, 0x40f, v15
	v_and_or_b32 v6, 0x8000, v10, v6
	v_cndmask_b32_e32 v9, v9, v11, vcc_lo
	v_and_b32_e32 v10, 0xffff, v6
	v_and_or_b32 v9, 0x8000, v12, v9
	v_add_co_u32 v6, vcc_lo, v7, s6
	v_add_co_ci_u32_e32 v7, vcc_lo, s3, v8, vcc_lo
	v_lshl_or_b32 v8, v9, 16, v10
	global_store_dword v[6:7], v8, off
	global_load_dword v10, v[0:1], off offset:416
	v_add_nc_u32_e32 v8, 0x800, v37
	ds_read2_b32 v[8:9], v8 offset0:104 offset1:192
	s_waitcnt lgkmcnt(0)
	v_lshrrev_b32_e32 v11, 16, v8
	s_waitcnt vmcnt(0)
	v_mul_f16_sdwa v12, v11, v10 dst_sel:DWORD dst_unused:UNUSED_PAD src0_sel:DWORD src1_sel:WORD_1
	v_mul_f16_sdwa v13, v8, v10 dst_sel:DWORD dst_unused:UNUSED_PAD src0_sel:DWORD src1_sel:WORD_1
	v_fmac_f16_e32 v12, v8, v10
	v_fma_f16 v8, v10, v11, -v13
	v_cvt_f32_f16_e32 v10, v12
	v_cvt_f32_f16_e32 v8, v8
	v_cvt_f64_f32_e32 v[10:11], v10
	v_cvt_f64_f32_e32 v[12:13], v8
	v_mul_f64 v[10:11], v[10:11], s[8:9]
	v_mul_f64 v[12:13], v[12:13], s[8:9]
	v_and_or_b32 v8, 0x1ff, v11, v10
	v_and_or_b32 v12, 0x1ff, v13, v12
	v_lshrrev_b32_e32 v10, 8, v11
	v_bfe_u32 v14, v11, 20, 11
	v_lshrrev_b32_e32 v15, 8, v13
	v_cmp_ne_u32_e32 vcc_lo, 0, v8
	v_bfe_u32 v16, v13, 20, 11
	v_lshrrev_b32_e32 v11, 16, v11
	v_sub_nc_u32_e32 v17, 0x3f1, v14
	v_add_nc_u32_e32 v14, 0xfffffc10, v14
	v_cndmask_b32_e64 v8, 0, 1, vcc_lo
	v_cmp_ne_u32_e32 vcc_lo, 0, v12
	v_lshrrev_b32_e32 v13, 16, v13
	v_and_or_b32 v8, 0xffe, v10, v8
	v_cndmask_b32_e64 v12, 0, 1, vcc_lo
	v_sub_nc_u32_e32 v10, 0x3f1, v16
	v_add_nc_u32_e32 v16, 0xfffffc10, v16
	v_and_or_b32 v12, 0xffe, v15, v12
	v_med3_i32 v15, v17, 0, 13
	v_or_b32_e32 v17, 0x1000, v8
	v_med3_i32 v10, v10, 0, 13
	v_or_b32_e32 v18, 0x1000, v12
	v_lshrrev_b32_e32 v19, v15, v17
	v_lshrrev_b32_e32 v20, v10, v18
	v_lshlrev_b32_e32 v15, v15, v19
	v_lshlrev_b32_e32 v10, v10, v20
	v_cmp_ne_u32_e32 vcc_lo, v15, v17
	v_lshl_or_b32 v17, v14, 12, v8
	v_cndmask_b32_e64 v15, 0, 1, vcc_lo
	v_cmp_ne_u32_e32 vcc_lo, v10, v18
	v_lshl_or_b32 v18, v16, 12, v12
	v_or_b32_e32 v15, v19, v15
	v_cndmask_b32_e64 v10, 0, 1, vcc_lo
	v_cmp_gt_i32_e32 vcc_lo, 1, v14
	v_or_b32_e32 v10, v20, v10
	v_cndmask_b32_e32 v15, v17, v15, vcc_lo
	v_cmp_gt_i32_e32 vcc_lo, 1, v16
	v_and_b32_e32 v17, 7, v15
	v_cndmask_b32_e32 v10, v18, v10, vcc_lo
	v_cmp_ne_u32_e32 vcc_lo, 0, v8
	v_lshrrev_b32_e32 v15, 2, v15
	v_cmp_eq_u32_e64 s0, 3, v17
	v_and_b32_e32 v18, 7, v10
	v_cndmask_b32_e64 v8, 0, 1, vcc_lo
	v_cmp_ne_u32_e32 vcc_lo, 0, v12
	v_lshrrev_b32_e32 v10, 2, v10
	v_cmp_lt_i32_e64 s1, 5, v18
	v_cmp_eq_u32_e64 s2, 3, v18
	v_cndmask_b32_e64 v12, 0, 1, vcc_lo
	v_cmp_lt_i32_e32 vcc_lo, 5, v17
	v_lshl_or_b32 v8, v8, 9, 0x7c00
	v_lshl_or_b32 v12, v12, 9, 0x7c00
	s_or_b32 vcc_lo, s0, vcc_lo
	v_add_co_ci_u32_e32 v15, vcc_lo, 0, v15, vcc_lo
	s_or_b32 vcc_lo, s2, s1
	v_add_co_ci_u32_e32 v10, vcc_lo, 0, v10, vcc_lo
	v_cmp_gt_i32_e32 vcc_lo, 31, v14
	v_cndmask_b32_e32 v15, 0x7c00, v15, vcc_lo
	v_cmp_gt_i32_e32 vcc_lo, 31, v16
	v_cndmask_b32_e32 v10, 0x7c00, v10, vcc_lo
	v_cmp_eq_u32_e32 vcc_lo, 0x40f, v14
	v_cndmask_b32_e32 v8, v15, v8, vcc_lo
	v_cmp_eq_u32_e32 vcc_lo, 0x40f, v16
	v_and_or_b32 v8, 0x8000, v11, v8
	v_cndmask_b32_e32 v10, v10, v12, vcc_lo
	v_add_co_u32 v6, vcc_lo, v6, s6
	v_add_co_ci_u32_e32 v7, vcc_lo, s3, v7, vcc_lo
	v_and_or_b32 v10, 0x8000, v13, v10
	v_and_b32_e32 v8, 0xffff, v8
	v_lshl_or_b32 v8, v10, 16, v8
	v_lshrrev_b32_e32 v10, 16, v9
	global_store_dword v[6:7], v8, off
	global_load_dword v8, v[0:1], off offset:768
	s_waitcnt vmcnt(0)
	v_mul_f16_sdwa v11, v10, v8 dst_sel:DWORD dst_unused:UNUSED_PAD src0_sel:DWORD src1_sel:WORD_1
	v_mul_f16_sdwa v12, v9, v8 dst_sel:DWORD dst_unused:UNUSED_PAD src0_sel:DWORD src1_sel:WORD_1
	v_fmac_f16_e32 v11, v9, v8
	v_fma_f16 v8, v8, v10, -v12
	v_cvt_f32_f16_e32 v9, v11
	v_cvt_f32_f16_e32 v10, v8
	v_cvt_f64_f32_e32 v[8:9], v9
	v_cvt_f64_f32_e32 v[10:11], v10
	v_mul_f64 v[8:9], v[8:9], s[8:9]
	v_mul_f64 v[10:11], v[10:11], s[8:9]
	v_and_or_b32 v8, 0x1ff, v9, v8
	v_and_or_b32 v10, 0x1ff, v11, v10
	v_lshrrev_b32_e32 v12, 8, v9
	v_bfe_u32 v13, v9, 20, 11
	v_lshrrev_b32_e32 v14, 8, v11
	v_cmp_ne_u32_e32 vcc_lo, 0, v8
	v_bfe_u32 v15, v11, 20, 11
	v_lshrrev_b32_e32 v9, 16, v9
	v_sub_nc_u32_e32 v16, 0x3f1, v13
	v_add_nc_u32_e32 v13, 0xfffffc10, v13
	v_cndmask_b32_e64 v8, 0, 1, vcc_lo
	v_cmp_ne_u32_e32 vcc_lo, 0, v10
	v_lshrrev_b32_e32 v11, 16, v11
	v_and_or_b32 v8, 0xffe, v12, v8
	v_cndmask_b32_e64 v10, 0, 1, vcc_lo
	v_sub_nc_u32_e32 v12, 0x3f1, v15
	v_add_nc_u32_e32 v15, 0xfffffc10, v15
	v_and_or_b32 v10, 0xffe, v14, v10
	v_med3_i32 v14, v16, 0, 13
	v_or_b32_e32 v16, 0x1000, v8
	v_med3_i32 v12, v12, 0, 13
	v_or_b32_e32 v17, 0x1000, v10
	v_lshrrev_b32_e32 v18, v14, v16
	v_lshrrev_b32_e32 v19, v12, v17
	v_lshlrev_b32_e32 v14, v14, v18
	v_lshlrev_b32_e32 v12, v12, v19
	v_cmp_ne_u32_e32 vcc_lo, v14, v16
	v_lshl_or_b32 v16, v13, 12, v8
	v_cndmask_b32_e64 v14, 0, 1, vcc_lo
	v_cmp_ne_u32_e32 vcc_lo, v12, v17
	v_lshl_or_b32 v17, v15, 12, v10
	v_or_b32_e32 v14, v18, v14
	v_cndmask_b32_e64 v12, 0, 1, vcc_lo
	v_cmp_gt_i32_e32 vcc_lo, 1, v13
	v_or_b32_e32 v12, v19, v12
	v_cndmask_b32_e32 v14, v16, v14, vcc_lo
	v_cmp_gt_i32_e32 vcc_lo, 1, v15
	v_and_b32_e32 v16, 7, v14
	v_cndmask_b32_e32 v12, v17, v12, vcc_lo
	v_cmp_ne_u32_e32 vcc_lo, 0, v8
	v_lshrrev_b32_e32 v14, 2, v14
	v_cmp_eq_u32_e64 s0, 3, v16
	v_and_b32_e32 v17, 7, v12
	v_cndmask_b32_e64 v8, 0, 1, vcc_lo
	v_cmp_ne_u32_e32 vcc_lo, 0, v10
	v_lshrrev_b32_e32 v12, 2, v12
	v_cmp_lt_i32_e64 s1, 5, v17
	v_cmp_eq_u32_e64 s2, 3, v17
	v_cndmask_b32_e64 v10, 0, 1, vcc_lo
	v_cmp_lt_i32_e32 vcc_lo, 5, v16
	v_lshl_or_b32 v8, v8, 9, 0x7c00
	v_lshl_or_b32 v10, v10, 9, 0x7c00
	s_or_b32 vcc_lo, s0, vcc_lo
	v_add_co_ci_u32_e32 v14, vcc_lo, 0, v14, vcc_lo
	s_or_b32 vcc_lo, s2, s1
	v_add_co_ci_u32_e32 v12, vcc_lo, 0, v12, vcc_lo
	v_cmp_gt_i32_e32 vcc_lo, 31, v13
	v_cndmask_b32_e32 v14, 0x7c00, v14, vcc_lo
	v_cmp_gt_i32_e32 vcc_lo, 31, v15
	v_cndmask_b32_e32 v12, 0x7c00, v12, vcc_lo
	v_cmp_eq_u32_e32 vcc_lo, 0x40f, v13
	v_cndmask_b32_e32 v8, v14, v8, vcc_lo
	v_cmp_eq_u32_e32 vcc_lo, 0x40f, v15
	v_and_or_b32 v8, 0x8000, v9, v8
	v_cndmask_b32_e32 v10, v12, v10, vcc_lo
	v_add_co_u32 v6, vcc_lo, v6, s6
	v_add_co_ci_u32_e32 v7, vcc_lo, s3, v7, vcc_lo
	v_and_or_b32 v9, 0x8000, v11, v10
	v_and_b32_e32 v8, 0xffff, v8
	v_lshl_or_b32 v8, v9, 16, v8
	global_store_dword v[6:7], v8, off
	global_load_dword v10, v[0:1], off offset:1120
	v_add_nc_u32_e32 v8, 0xc00, v37
	ds_read2_b32 v[8:9], v8 offset0:24 offset1:112
	s_waitcnt lgkmcnt(0)
	v_lshrrev_b32_e32 v11, 16, v8
	s_waitcnt vmcnt(0)
	v_mul_f16_sdwa v12, v11, v10 dst_sel:DWORD dst_unused:UNUSED_PAD src0_sel:DWORD src1_sel:WORD_1
	v_mul_f16_sdwa v13, v8, v10 dst_sel:DWORD dst_unused:UNUSED_PAD src0_sel:DWORD src1_sel:WORD_1
	v_fmac_f16_e32 v12, v8, v10
	v_fma_f16 v8, v10, v11, -v13
	v_cvt_f32_f16_e32 v10, v12
	v_cvt_f32_f16_e32 v8, v8
	v_cvt_f64_f32_e32 v[10:11], v10
	v_cvt_f64_f32_e32 v[12:13], v8
	v_mul_f64 v[10:11], v[10:11], s[8:9]
	v_mul_f64 v[12:13], v[12:13], s[8:9]
	v_and_or_b32 v8, 0x1ff, v11, v10
	v_and_or_b32 v12, 0x1ff, v13, v12
	v_lshrrev_b32_e32 v10, 8, v11
	v_bfe_u32 v14, v11, 20, 11
	v_lshrrev_b32_e32 v15, 8, v13
	v_cmp_ne_u32_e32 vcc_lo, 0, v8
	v_bfe_u32 v16, v13, 20, 11
	v_lshrrev_b32_e32 v11, 16, v11
	v_sub_nc_u32_e32 v17, 0x3f1, v14
	v_add_nc_u32_e32 v14, 0xfffffc10, v14
	v_cndmask_b32_e64 v8, 0, 1, vcc_lo
	v_cmp_ne_u32_e32 vcc_lo, 0, v12
	v_lshrrev_b32_e32 v13, 16, v13
	v_and_or_b32 v8, 0xffe, v10, v8
	v_cndmask_b32_e64 v12, 0, 1, vcc_lo
	v_sub_nc_u32_e32 v10, 0x3f1, v16
	v_add_nc_u32_e32 v16, 0xfffffc10, v16
	v_and_or_b32 v12, 0xffe, v15, v12
	v_med3_i32 v15, v17, 0, 13
	v_or_b32_e32 v17, 0x1000, v8
	v_med3_i32 v10, v10, 0, 13
	v_or_b32_e32 v18, 0x1000, v12
	v_lshrrev_b32_e32 v19, v15, v17
	v_lshrrev_b32_e32 v20, v10, v18
	v_lshlrev_b32_e32 v15, v15, v19
	v_lshlrev_b32_e32 v10, v10, v20
	v_cmp_ne_u32_e32 vcc_lo, v15, v17
	v_lshl_or_b32 v17, v14, 12, v8
	v_cndmask_b32_e64 v15, 0, 1, vcc_lo
	v_cmp_ne_u32_e32 vcc_lo, v10, v18
	v_lshl_or_b32 v18, v16, 12, v12
	v_or_b32_e32 v15, v19, v15
	v_cndmask_b32_e64 v10, 0, 1, vcc_lo
	v_cmp_gt_i32_e32 vcc_lo, 1, v14
	v_or_b32_e32 v10, v20, v10
	v_cndmask_b32_e32 v15, v17, v15, vcc_lo
	v_cmp_gt_i32_e32 vcc_lo, 1, v16
	v_and_b32_e32 v17, 7, v15
	v_cndmask_b32_e32 v10, v18, v10, vcc_lo
	v_cmp_ne_u32_e32 vcc_lo, 0, v8
	v_lshrrev_b32_e32 v15, 2, v15
	v_cmp_eq_u32_e64 s0, 3, v17
	v_and_b32_e32 v18, 7, v10
	v_cndmask_b32_e64 v8, 0, 1, vcc_lo
	v_cmp_ne_u32_e32 vcc_lo, 0, v12
	v_lshrrev_b32_e32 v10, 2, v10
	v_cmp_lt_i32_e64 s1, 5, v18
	v_cmp_eq_u32_e64 s2, 3, v18
	v_cndmask_b32_e64 v12, 0, 1, vcc_lo
	v_cmp_lt_i32_e32 vcc_lo, 5, v17
	v_lshl_or_b32 v8, v8, 9, 0x7c00
	v_lshl_or_b32 v12, v12, 9, 0x7c00
	s_or_b32 vcc_lo, s0, vcc_lo
	v_add_co_ci_u32_e32 v15, vcc_lo, 0, v15, vcc_lo
	s_or_b32 vcc_lo, s2, s1
	v_add_co_ci_u32_e32 v10, vcc_lo, 0, v10, vcc_lo
	v_cmp_gt_i32_e32 vcc_lo, 31, v14
	v_cndmask_b32_e32 v15, 0x7c00, v15, vcc_lo
	v_cmp_gt_i32_e32 vcc_lo, 31, v16
	v_cndmask_b32_e32 v10, 0x7c00, v10, vcc_lo
	v_cmp_eq_u32_e32 vcc_lo, 0x40f, v14
	v_cndmask_b32_e32 v8, v15, v8, vcc_lo
	v_cmp_eq_u32_e32 vcc_lo, 0x40f, v16
	v_and_or_b32 v8, 0x8000, v11, v8
	v_cndmask_b32_e32 v10, v10, v12, vcc_lo
	v_add_co_u32 v6, vcc_lo, v6, s6
	v_add_co_ci_u32_e32 v7, vcc_lo, s3, v7, vcc_lo
	v_and_or_b32 v10, 0x8000, v13, v10
	v_and_b32_e32 v8, 0xffff, v8
	v_lshl_or_b32 v8, v10, 16, v8
	v_lshrrev_b32_e32 v10, 16, v9
	global_store_dword v[6:7], v8, off
	global_load_dword v8, v[0:1], off offset:1472
	s_waitcnt vmcnt(0)
	v_mul_f16_sdwa v11, v10, v8 dst_sel:DWORD dst_unused:UNUSED_PAD src0_sel:DWORD src1_sel:WORD_1
	v_mul_f16_sdwa v12, v9, v8 dst_sel:DWORD dst_unused:UNUSED_PAD src0_sel:DWORD src1_sel:WORD_1
	v_fmac_f16_e32 v11, v9, v8
	v_fma_f16 v8, v8, v10, -v12
	v_cvt_f32_f16_e32 v9, v11
	v_cvt_f32_f16_e32 v10, v8
	v_cvt_f64_f32_e32 v[8:9], v9
	v_cvt_f64_f32_e32 v[10:11], v10
	v_mul_f64 v[8:9], v[8:9], s[8:9]
	v_mul_f64 v[10:11], v[10:11], s[8:9]
	v_and_or_b32 v8, 0x1ff, v9, v8
	v_and_or_b32 v10, 0x1ff, v11, v10
	v_lshrrev_b32_e32 v12, 8, v9
	v_bfe_u32 v13, v9, 20, 11
	v_lshrrev_b32_e32 v14, 8, v11
	v_cmp_ne_u32_e32 vcc_lo, 0, v8
	v_bfe_u32 v15, v11, 20, 11
	v_lshrrev_b32_e32 v9, 16, v9
	v_sub_nc_u32_e32 v16, 0x3f1, v13
	v_add_nc_u32_e32 v13, 0xfffffc10, v13
	v_cndmask_b32_e64 v8, 0, 1, vcc_lo
	v_cmp_ne_u32_e32 vcc_lo, 0, v10
	v_lshrrev_b32_e32 v11, 16, v11
	v_and_or_b32 v8, 0xffe, v12, v8
	v_cndmask_b32_e64 v10, 0, 1, vcc_lo
	v_sub_nc_u32_e32 v12, 0x3f1, v15
	v_add_nc_u32_e32 v15, 0xfffffc10, v15
	v_and_or_b32 v10, 0xffe, v14, v10
	v_med3_i32 v14, v16, 0, 13
	v_or_b32_e32 v16, 0x1000, v8
	v_med3_i32 v12, v12, 0, 13
	v_or_b32_e32 v17, 0x1000, v10
	v_lshrrev_b32_e32 v18, v14, v16
	v_lshrrev_b32_e32 v19, v12, v17
	v_lshlrev_b32_e32 v14, v14, v18
	v_lshlrev_b32_e32 v12, v12, v19
	v_cmp_ne_u32_e32 vcc_lo, v14, v16
	v_lshl_or_b32 v16, v13, 12, v8
	v_cndmask_b32_e64 v14, 0, 1, vcc_lo
	v_cmp_ne_u32_e32 vcc_lo, v12, v17
	v_lshl_or_b32 v17, v15, 12, v10
	v_or_b32_e32 v14, v18, v14
	v_cndmask_b32_e64 v12, 0, 1, vcc_lo
	v_cmp_gt_i32_e32 vcc_lo, 1, v13
	v_or_b32_e32 v12, v19, v12
	v_cndmask_b32_e32 v14, v16, v14, vcc_lo
	v_cmp_gt_i32_e32 vcc_lo, 1, v15
	v_and_b32_e32 v16, 7, v14
	v_cndmask_b32_e32 v12, v17, v12, vcc_lo
	v_cmp_ne_u32_e32 vcc_lo, 0, v8
	v_lshrrev_b32_e32 v14, 2, v14
	v_cmp_eq_u32_e64 s0, 3, v16
	v_and_b32_e32 v17, 7, v12
	v_cndmask_b32_e64 v8, 0, 1, vcc_lo
	v_cmp_ne_u32_e32 vcc_lo, 0, v10
	v_lshrrev_b32_e32 v12, 2, v12
	v_cmp_lt_i32_e64 s1, 5, v17
	v_cmp_eq_u32_e64 s2, 3, v17
	v_cndmask_b32_e64 v10, 0, 1, vcc_lo
	v_cmp_lt_i32_e32 vcc_lo, 5, v16
	v_lshl_or_b32 v8, v8, 9, 0x7c00
	v_lshl_or_b32 v10, v10, 9, 0x7c00
	s_or_b32 vcc_lo, s0, vcc_lo
	v_add_co_ci_u32_e32 v14, vcc_lo, 0, v14, vcc_lo
	s_or_b32 vcc_lo, s2, s1
	v_add_co_ci_u32_e32 v12, vcc_lo, 0, v12, vcc_lo
	v_cmp_gt_i32_e32 vcc_lo, 31, v13
	v_cndmask_b32_e32 v14, 0x7c00, v14, vcc_lo
	v_cmp_gt_i32_e32 vcc_lo, 31, v15
	v_cndmask_b32_e32 v12, 0x7c00, v12, vcc_lo
	v_cmp_eq_u32_e32 vcc_lo, 0x40f, v13
	v_cndmask_b32_e32 v8, v14, v8, vcc_lo
	v_cmp_eq_u32_e32 vcc_lo, 0x40f, v15
	v_and_or_b32 v8, 0x8000, v9, v8
	v_cndmask_b32_e32 v10, v12, v10, vcc_lo
	v_add_co_u32 v6, vcc_lo, v6, s6
	v_add_co_ci_u32_e32 v7, vcc_lo, s3, v7, vcc_lo
	v_and_or_b32 v9, 0x8000, v11, v10
	v_and_b32_e32 v8, 0xffff, v8
	v_lshl_or_b32 v8, v9, 16, v8
	global_store_dword v[6:7], v8, off
	global_load_dword v8, v[0:1], off offset:1824
	v_add_nc_u32_e32 v0, 0xe00, v37
	ds_read2_b32 v[0:1], v0 offset0:72 offset1:160
	s_waitcnt lgkmcnt(0)
	v_lshrrev_b32_e32 v9, 16, v0
	s_waitcnt vmcnt(0)
	v_mul_f16_sdwa v10, v9, v8 dst_sel:DWORD dst_unused:UNUSED_PAD src0_sel:DWORD src1_sel:WORD_1
	v_mul_f16_sdwa v11, v0, v8 dst_sel:DWORD dst_unused:UNUSED_PAD src0_sel:DWORD src1_sel:WORD_1
	v_fmac_f16_e32 v10, v0, v8
	v_fma_f16 v0, v8, v9, -v11
	v_cvt_f32_f16_e32 v8, v10
	v_cvt_f32_f16_e32 v0, v0
	v_cvt_f64_f32_e32 v[8:9], v8
	v_cvt_f64_f32_e32 v[10:11], v0
	v_mul_f64 v[8:9], v[8:9], s[8:9]
	v_mul_f64 v[10:11], v[10:11], s[8:9]
	v_and_or_b32 v0, 0x1ff, v9, v8
	v_and_or_b32 v10, 0x1ff, v11, v10
	v_lshrrev_b32_e32 v8, 8, v9
	v_bfe_u32 v12, v9, 20, 11
	v_lshrrev_b32_e32 v13, 8, v11
	v_cmp_ne_u32_e32 vcc_lo, 0, v0
	v_bfe_u32 v14, v11, 20, 11
	v_lshrrev_b32_e32 v9, 16, v9
	v_sub_nc_u32_e32 v15, 0x3f1, v12
	v_add_nc_u32_e32 v12, 0xfffffc10, v12
	v_cndmask_b32_e64 v0, 0, 1, vcc_lo
	v_cmp_ne_u32_e32 vcc_lo, 0, v10
	v_lshrrev_b32_e32 v11, 16, v11
	v_and_or_b32 v0, 0xffe, v8, v0
	v_cndmask_b32_e64 v10, 0, 1, vcc_lo
	v_sub_nc_u32_e32 v8, 0x3f1, v14
	v_add_nc_u32_e32 v14, 0xfffffc10, v14
	v_and_or_b32 v10, 0xffe, v13, v10
	v_med3_i32 v13, v15, 0, 13
	v_or_b32_e32 v15, 0x1000, v0
	v_med3_i32 v8, v8, 0, 13
	v_or_b32_e32 v16, 0x1000, v10
	v_lshrrev_b32_e32 v17, v13, v15
	v_lshrrev_b32_e32 v18, v8, v16
	v_lshlrev_b32_e32 v13, v13, v17
	v_lshlrev_b32_e32 v8, v8, v18
	v_cmp_ne_u32_e32 vcc_lo, v13, v15
	v_lshl_or_b32 v15, v12, 12, v0
	v_cndmask_b32_e64 v13, 0, 1, vcc_lo
	v_cmp_ne_u32_e32 vcc_lo, v8, v16
	v_lshl_or_b32 v16, v14, 12, v10
	v_or_b32_e32 v13, v17, v13
	v_cndmask_b32_e64 v8, 0, 1, vcc_lo
	v_cmp_gt_i32_e32 vcc_lo, 1, v12
	v_or_b32_e32 v8, v18, v8
	v_cndmask_b32_e32 v13, v15, v13, vcc_lo
	v_cmp_gt_i32_e32 vcc_lo, 1, v14
	v_and_b32_e32 v15, 7, v13
	v_cndmask_b32_e32 v8, v16, v8, vcc_lo
	v_cmp_ne_u32_e32 vcc_lo, 0, v0
	v_lshrrev_b32_e32 v13, 2, v13
	v_cmp_eq_u32_e64 s0, 3, v15
	v_and_b32_e32 v16, 7, v8
	v_cndmask_b32_e64 v0, 0, 1, vcc_lo
	v_cmp_ne_u32_e32 vcc_lo, 0, v10
	v_lshrrev_b32_e32 v8, 2, v8
	v_cmp_lt_i32_e64 s1, 5, v16
	v_cmp_eq_u32_e64 s2, 3, v16
	v_cndmask_b32_e64 v10, 0, 1, vcc_lo
	v_cmp_lt_i32_e32 vcc_lo, 5, v15
	v_lshl_or_b32 v0, v0, 9, 0x7c00
	v_lshl_or_b32 v10, v10, 9, 0x7c00
	s_or_b32 vcc_lo, s0, vcc_lo
	v_add_co_ci_u32_e32 v13, vcc_lo, 0, v13, vcc_lo
	s_or_b32 vcc_lo, s2, s1
	v_add_co_ci_u32_e32 v8, vcc_lo, 0, v8, vcc_lo
	v_cmp_gt_i32_e32 vcc_lo, 31, v12
	v_cndmask_b32_e32 v13, 0x7c00, v13, vcc_lo
	v_cmp_gt_i32_e32 vcc_lo, 31, v14
	v_cndmask_b32_e32 v8, 0x7c00, v8, vcc_lo
	v_cmp_eq_u32_e32 vcc_lo, 0x40f, v12
	v_cndmask_b32_e32 v0, v13, v0, vcc_lo
	v_cmp_eq_u32_e32 vcc_lo, 0x40f, v14
	v_and_or_b32 v0, 0x8000, v9, v0
	v_cndmask_b32_e32 v8, v8, v10, vcc_lo
	v_add_co_u32 v6, vcc_lo, v6, s6
	v_add_co_ci_u32_e32 v7, vcc_lo, s3, v7, vcc_lo
	v_and_or_b32 v8, 0x8000, v11, v8
	v_and_b32_e32 v0, 0xffff, v0
	v_add_co_u32 v4, vcc_lo, 0x1000, v4
	v_add_co_ci_u32_e32 v5, vcc_lo, 0, v5, vcc_lo
	v_lshl_or_b32 v0, v8, 16, v0
	v_lshrrev_b32_e32 v8, 16, v1
	global_store_dword v[6:7], v0, off
	global_load_dword v0, v[4:5], off offset:128
	s_waitcnt vmcnt(0)
	v_mul_f16_sdwa v9, v8, v0 dst_sel:DWORD dst_unused:UNUSED_PAD src0_sel:DWORD src1_sel:WORD_1
	v_mul_f16_sdwa v10, v1, v0 dst_sel:DWORD dst_unused:UNUSED_PAD src0_sel:DWORD src1_sel:WORD_1
	v_fmac_f16_e32 v9, v1, v0
	v_fma_f16 v0, v0, v8, -v10
	v_cvt_f32_f16_e32 v1, v9
	v_cvt_f32_f16_e32 v8, v0
	v_cvt_f64_f32_e32 v[0:1], v1
	v_cvt_f64_f32_e32 v[8:9], v8
	v_mul_f64 v[0:1], v[0:1], s[8:9]
	v_mul_f64 v[8:9], v[8:9], s[8:9]
	v_and_or_b32 v0, 0x1ff, v1, v0
	v_and_or_b32 v8, 0x1ff, v9, v8
	v_lshrrev_b32_e32 v10, 8, v1
	v_bfe_u32 v11, v1, 20, 11
	v_lshrrev_b32_e32 v12, 8, v9
	v_cmp_ne_u32_e32 vcc_lo, 0, v0
	v_bfe_u32 v13, v9, 20, 11
	v_lshrrev_b32_e32 v1, 16, v1
	v_sub_nc_u32_e32 v14, 0x3f1, v11
	v_add_nc_u32_e32 v11, 0xfffffc10, v11
	v_cndmask_b32_e64 v0, 0, 1, vcc_lo
	v_cmp_ne_u32_e32 vcc_lo, 0, v8
	v_lshrrev_b32_e32 v9, 16, v9
	v_and_or_b32 v0, 0xffe, v10, v0
	v_cndmask_b32_e64 v8, 0, 1, vcc_lo
	v_sub_nc_u32_e32 v10, 0x3f1, v13
	v_add_nc_u32_e32 v13, 0xfffffc10, v13
	v_and_or_b32 v8, 0xffe, v12, v8
	v_med3_i32 v12, v14, 0, 13
	v_or_b32_e32 v14, 0x1000, v0
	v_med3_i32 v10, v10, 0, 13
	v_or_b32_e32 v15, 0x1000, v8
	v_lshrrev_b32_e32 v16, v12, v14
	v_lshrrev_b32_e32 v17, v10, v15
	v_lshlrev_b32_e32 v12, v12, v16
	v_lshlrev_b32_e32 v10, v10, v17
	v_cmp_ne_u32_e32 vcc_lo, v12, v14
	v_lshl_or_b32 v14, v11, 12, v0
	v_cndmask_b32_e64 v12, 0, 1, vcc_lo
	v_cmp_ne_u32_e32 vcc_lo, v10, v15
	v_lshl_or_b32 v15, v13, 12, v8
	v_or_b32_e32 v12, v16, v12
	v_cndmask_b32_e64 v10, 0, 1, vcc_lo
	v_cmp_gt_i32_e32 vcc_lo, 1, v11
	v_or_b32_e32 v10, v17, v10
	v_cndmask_b32_e32 v12, v14, v12, vcc_lo
	v_cmp_gt_i32_e32 vcc_lo, 1, v13
	v_and_b32_e32 v14, 7, v12
	v_cndmask_b32_e32 v10, v15, v10, vcc_lo
	v_cmp_ne_u32_e32 vcc_lo, 0, v0
	v_lshrrev_b32_e32 v12, 2, v12
	v_cmp_eq_u32_e64 s0, 3, v14
	v_and_b32_e32 v15, 7, v10
	v_cndmask_b32_e64 v0, 0, 1, vcc_lo
	v_cmp_ne_u32_e32 vcc_lo, 0, v8
	v_lshrrev_b32_e32 v10, 2, v10
	v_cmp_lt_i32_e64 s1, 5, v15
	v_cmp_eq_u32_e64 s2, 3, v15
	v_cndmask_b32_e64 v8, 0, 1, vcc_lo
	v_cmp_lt_i32_e32 vcc_lo, 5, v14
	v_lshl_or_b32 v0, v0, 9, 0x7c00
	v_lshl_or_b32 v8, v8, 9, 0x7c00
	s_or_b32 vcc_lo, s0, vcc_lo
	v_add_co_ci_u32_e32 v12, vcc_lo, 0, v12, vcc_lo
	s_or_b32 vcc_lo, s2, s1
	v_add_co_ci_u32_e32 v10, vcc_lo, 0, v10, vcc_lo
	v_cmp_gt_i32_e32 vcc_lo, 31, v11
	v_cndmask_b32_e32 v12, 0x7c00, v12, vcc_lo
	v_cmp_gt_i32_e32 vcc_lo, 31, v13
	v_cndmask_b32_e32 v10, 0x7c00, v10, vcc_lo
	v_cmp_eq_u32_e32 vcc_lo, 0x40f, v11
	v_cndmask_b32_e32 v0, v12, v0, vcc_lo
	v_cmp_eq_u32_e32 vcc_lo, 0x40f, v13
	v_and_or_b32 v0, 0x8000, v1, v0
	v_cndmask_b32_e32 v8, v10, v8, vcc_lo
	v_and_or_b32 v8, 0x8000, v9, v8
	v_and_b32_e32 v9, 0xffff, v0
	v_add_co_u32 v0, vcc_lo, v6, s6
	v_add_co_ci_u32_e32 v1, vcc_lo, s3, v7, vcc_lo
	v_lshl_or_b32 v6, v8, 16, v9
	global_store_dword v[0:1], v6, off
	global_load_dword v8, v[4:5], off offset:480
	v_add_nc_u32_e32 v6, 0x1000, v37
	ds_read2_b32 v[6:7], v6 offset0:120 offset1:208
	s_waitcnt lgkmcnt(0)
	v_lshrrev_b32_e32 v9, 16, v6
	s_waitcnt vmcnt(0)
	v_mul_f16_sdwa v10, v9, v8 dst_sel:DWORD dst_unused:UNUSED_PAD src0_sel:DWORD src1_sel:WORD_1
	v_mul_f16_sdwa v11, v6, v8 dst_sel:DWORD dst_unused:UNUSED_PAD src0_sel:DWORD src1_sel:WORD_1
	v_fmac_f16_e32 v10, v6, v8
	v_fma_f16 v6, v8, v9, -v11
	v_cvt_f32_f16_e32 v8, v10
	v_cvt_f32_f16_e32 v6, v6
	v_cvt_f64_f32_e32 v[8:9], v8
	v_cvt_f64_f32_e32 v[10:11], v6
	v_mul_f64 v[8:9], v[8:9], s[8:9]
	v_mul_f64 v[10:11], v[10:11], s[8:9]
	v_and_or_b32 v6, 0x1ff, v9, v8
	v_and_or_b32 v10, 0x1ff, v11, v10
	v_lshrrev_b32_e32 v8, 8, v9
	v_bfe_u32 v12, v9, 20, 11
	v_lshrrev_b32_e32 v13, 8, v11
	v_cmp_ne_u32_e32 vcc_lo, 0, v6
	v_bfe_u32 v14, v11, 20, 11
	v_lshrrev_b32_e32 v9, 16, v9
	v_sub_nc_u32_e32 v15, 0x3f1, v12
	v_add_nc_u32_e32 v12, 0xfffffc10, v12
	v_cndmask_b32_e64 v6, 0, 1, vcc_lo
	v_cmp_ne_u32_e32 vcc_lo, 0, v10
	v_lshrrev_b32_e32 v11, 16, v11
	v_and_or_b32 v6, 0xffe, v8, v6
	v_cndmask_b32_e64 v10, 0, 1, vcc_lo
	v_sub_nc_u32_e32 v8, 0x3f1, v14
	v_add_nc_u32_e32 v14, 0xfffffc10, v14
	v_and_or_b32 v10, 0xffe, v13, v10
	v_med3_i32 v13, v15, 0, 13
	v_or_b32_e32 v15, 0x1000, v6
	v_med3_i32 v8, v8, 0, 13
	v_or_b32_e32 v16, 0x1000, v10
	v_lshrrev_b32_e32 v17, v13, v15
	v_lshrrev_b32_e32 v18, v8, v16
	v_lshlrev_b32_e32 v13, v13, v17
	v_lshlrev_b32_e32 v8, v8, v18
	v_cmp_ne_u32_e32 vcc_lo, v13, v15
	v_lshl_or_b32 v15, v12, 12, v6
	v_cndmask_b32_e64 v13, 0, 1, vcc_lo
	v_cmp_ne_u32_e32 vcc_lo, v8, v16
	v_lshl_or_b32 v16, v14, 12, v10
	v_or_b32_e32 v13, v17, v13
	v_cndmask_b32_e64 v8, 0, 1, vcc_lo
	v_cmp_gt_i32_e32 vcc_lo, 1, v12
	v_or_b32_e32 v8, v18, v8
	v_cndmask_b32_e32 v13, v15, v13, vcc_lo
	v_cmp_gt_i32_e32 vcc_lo, 1, v14
	v_and_b32_e32 v15, 7, v13
	v_cndmask_b32_e32 v8, v16, v8, vcc_lo
	v_cmp_ne_u32_e32 vcc_lo, 0, v6
	v_lshrrev_b32_e32 v13, 2, v13
	v_cmp_eq_u32_e64 s0, 3, v15
	v_and_b32_e32 v16, 7, v8
	v_cndmask_b32_e64 v6, 0, 1, vcc_lo
	v_cmp_ne_u32_e32 vcc_lo, 0, v10
	v_lshrrev_b32_e32 v8, 2, v8
	v_cmp_lt_i32_e64 s1, 5, v16
	v_cmp_eq_u32_e64 s2, 3, v16
	v_cndmask_b32_e64 v10, 0, 1, vcc_lo
	v_cmp_lt_i32_e32 vcc_lo, 5, v15
	v_lshl_or_b32 v6, v6, 9, 0x7c00
	v_lshl_or_b32 v10, v10, 9, 0x7c00
	s_or_b32 vcc_lo, s0, vcc_lo
	v_add_co_ci_u32_e32 v13, vcc_lo, 0, v13, vcc_lo
	s_or_b32 vcc_lo, s2, s1
	v_add_co_ci_u32_e32 v8, vcc_lo, 0, v8, vcc_lo
	v_cmp_gt_i32_e32 vcc_lo, 31, v12
	v_cndmask_b32_e32 v13, 0x7c00, v13, vcc_lo
	v_cmp_gt_i32_e32 vcc_lo, 31, v14
	v_cndmask_b32_e32 v8, 0x7c00, v8, vcc_lo
	v_cmp_eq_u32_e32 vcc_lo, 0x40f, v12
	v_cndmask_b32_e32 v6, v13, v6, vcc_lo
	v_cmp_eq_u32_e32 vcc_lo, 0x40f, v14
	v_and_or_b32 v6, 0x8000, v9, v6
	v_cndmask_b32_e32 v8, v8, v10, vcc_lo
	v_add_co_u32 v0, vcc_lo, v0, s6
	v_add_co_ci_u32_e32 v1, vcc_lo, s3, v1, vcc_lo
	v_and_or_b32 v8, 0x8000, v11, v8
	v_and_b32_e32 v6, 0xffff, v6
	v_lshl_or_b32 v6, v8, 16, v6
	v_lshrrev_b32_e32 v8, 16, v7
	global_store_dword v[0:1], v6, off
	global_load_dword v6, v[4:5], off offset:832
	s_waitcnt vmcnt(0)
	v_mul_f16_sdwa v9, v8, v6 dst_sel:DWORD dst_unused:UNUSED_PAD src0_sel:DWORD src1_sel:WORD_1
	v_mul_f16_sdwa v10, v7, v6 dst_sel:DWORD dst_unused:UNUSED_PAD src0_sel:DWORD src1_sel:WORD_1
	v_fmac_f16_e32 v9, v7, v6
	v_fma_f16 v6, v6, v8, -v10
	v_cvt_f32_f16_e32 v7, v9
	v_cvt_f32_f16_e32 v8, v6
	v_cvt_f64_f32_e32 v[6:7], v7
	v_cvt_f64_f32_e32 v[8:9], v8
	v_mul_f64 v[6:7], v[6:7], s[8:9]
	v_mul_f64 v[8:9], v[8:9], s[8:9]
	v_and_or_b32 v6, 0x1ff, v7, v6
	v_and_or_b32 v8, 0x1ff, v9, v8
	v_lshrrev_b32_e32 v10, 8, v7
	v_bfe_u32 v11, v7, 20, 11
	v_lshrrev_b32_e32 v12, 8, v9
	v_cmp_ne_u32_e32 vcc_lo, 0, v6
	v_bfe_u32 v13, v9, 20, 11
	v_lshrrev_b32_e32 v7, 16, v7
	v_sub_nc_u32_e32 v14, 0x3f1, v11
	v_add_nc_u32_e32 v11, 0xfffffc10, v11
	v_cndmask_b32_e64 v6, 0, 1, vcc_lo
	v_cmp_ne_u32_e32 vcc_lo, 0, v8
	v_lshrrev_b32_e32 v9, 16, v9
	v_and_or_b32 v6, 0xffe, v10, v6
	v_cndmask_b32_e64 v8, 0, 1, vcc_lo
	v_sub_nc_u32_e32 v10, 0x3f1, v13
	v_add_nc_u32_e32 v13, 0xfffffc10, v13
	v_and_or_b32 v8, 0xffe, v12, v8
	v_med3_i32 v12, v14, 0, 13
	v_or_b32_e32 v14, 0x1000, v6
	v_med3_i32 v10, v10, 0, 13
	v_or_b32_e32 v15, 0x1000, v8
	v_lshrrev_b32_e32 v16, v12, v14
	v_lshrrev_b32_e32 v17, v10, v15
	v_lshlrev_b32_e32 v12, v12, v16
	v_lshlrev_b32_e32 v10, v10, v17
	v_cmp_ne_u32_e32 vcc_lo, v12, v14
	v_lshl_or_b32 v14, v11, 12, v6
	v_cndmask_b32_e64 v12, 0, 1, vcc_lo
	v_cmp_ne_u32_e32 vcc_lo, v10, v15
	v_lshl_or_b32 v15, v13, 12, v8
	v_or_b32_e32 v12, v16, v12
	v_cndmask_b32_e64 v10, 0, 1, vcc_lo
	v_cmp_gt_i32_e32 vcc_lo, 1, v11
	v_or_b32_e32 v10, v17, v10
	v_cndmask_b32_e32 v12, v14, v12, vcc_lo
	v_cmp_gt_i32_e32 vcc_lo, 1, v13
	v_and_b32_e32 v14, 7, v12
	v_cndmask_b32_e32 v10, v15, v10, vcc_lo
	v_cmp_ne_u32_e32 vcc_lo, 0, v6
	v_lshrrev_b32_e32 v12, 2, v12
	v_cmp_eq_u32_e64 s0, 3, v14
	v_and_b32_e32 v15, 7, v10
	v_cndmask_b32_e64 v6, 0, 1, vcc_lo
	v_cmp_ne_u32_e32 vcc_lo, 0, v8
	v_lshrrev_b32_e32 v10, 2, v10
	v_cmp_lt_i32_e64 s1, 5, v15
	v_cmp_eq_u32_e64 s2, 3, v15
	v_cndmask_b32_e64 v8, 0, 1, vcc_lo
	v_cmp_lt_i32_e32 vcc_lo, 5, v14
	v_lshl_or_b32 v6, v6, 9, 0x7c00
	v_lshl_or_b32 v8, v8, 9, 0x7c00
	s_or_b32 vcc_lo, s0, vcc_lo
	v_add_co_ci_u32_e32 v12, vcc_lo, 0, v12, vcc_lo
	s_or_b32 vcc_lo, s2, s1
	v_add_co_ci_u32_e32 v10, vcc_lo, 0, v10, vcc_lo
	v_cmp_gt_i32_e32 vcc_lo, 31, v11
	v_cndmask_b32_e32 v12, 0x7c00, v12, vcc_lo
	v_cmp_gt_i32_e32 vcc_lo, 31, v13
	v_cndmask_b32_e32 v10, 0x7c00, v10, vcc_lo
	v_cmp_eq_u32_e32 vcc_lo, 0x40f, v11
	v_cndmask_b32_e32 v6, v12, v6, vcc_lo
	v_cmp_eq_u32_e32 vcc_lo, 0x40f, v13
	v_and_or_b32 v6, 0x8000, v7, v6
	v_cndmask_b32_e32 v8, v10, v8, vcc_lo
	v_add_co_u32 v0, vcc_lo, v0, s6
	v_add_co_ci_u32_e32 v1, vcc_lo, s3, v1, vcc_lo
	v_and_or_b32 v7, 0x8000, v9, v8
	v_and_b32_e32 v6, 0xffff, v6
	v_lshl_or_b32 v6, v7, 16, v6
	global_store_dword v[0:1], v6, off
	global_load_dword v6, v[4:5], off offset:1184
	v_add_nc_u32_e32 v4, 0x1400, v37
	ds_read2_b32 v[4:5], v4 offset0:40 offset1:128
	s_waitcnt lgkmcnt(0)
	v_lshrrev_b32_e32 v7, 16, v4
	s_waitcnt vmcnt(0)
	v_mul_f16_sdwa v8, v7, v6 dst_sel:DWORD dst_unused:UNUSED_PAD src0_sel:DWORD src1_sel:WORD_1
	v_mul_f16_sdwa v9, v4, v6 dst_sel:DWORD dst_unused:UNUSED_PAD src0_sel:DWORD src1_sel:WORD_1
	v_fmac_f16_e32 v8, v4, v6
	v_fma_f16 v4, v6, v7, -v9
	v_cvt_f32_f16_e32 v6, v8
	v_cvt_f32_f16_e32 v4, v4
	v_cvt_f64_f32_e32 v[6:7], v6
	v_cvt_f64_f32_e32 v[8:9], v4
	v_mul_f64 v[6:7], v[6:7], s[8:9]
	v_mul_f64 v[8:9], v[8:9], s[8:9]
	v_and_or_b32 v4, 0x1ff, v7, v6
	v_and_or_b32 v8, 0x1ff, v9, v8
	v_lshrrev_b32_e32 v6, 8, v7
	v_bfe_u32 v10, v7, 20, 11
	v_lshrrev_b32_e32 v11, 8, v9
	v_cmp_ne_u32_e32 vcc_lo, 0, v4
	v_bfe_u32 v12, v9, 20, 11
	v_lshrrev_b32_e32 v7, 16, v7
	v_sub_nc_u32_e32 v13, 0x3f1, v10
	v_add_nc_u32_e32 v10, 0xfffffc10, v10
	v_cndmask_b32_e64 v4, 0, 1, vcc_lo
	v_cmp_ne_u32_e32 vcc_lo, 0, v8
	v_lshrrev_b32_e32 v9, 16, v9
	v_and_or_b32 v4, 0xffe, v6, v4
	v_cndmask_b32_e64 v8, 0, 1, vcc_lo
	v_sub_nc_u32_e32 v6, 0x3f1, v12
	v_add_nc_u32_e32 v12, 0xfffffc10, v12
	v_and_or_b32 v8, 0xffe, v11, v8
	v_med3_i32 v11, v13, 0, 13
	v_or_b32_e32 v13, 0x1000, v4
	v_med3_i32 v6, v6, 0, 13
	v_or_b32_e32 v14, 0x1000, v8
	v_lshrrev_b32_e32 v15, v11, v13
	v_lshrrev_b32_e32 v16, v6, v14
	v_lshlrev_b32_e32 v11, v11, v15
	v_lshlrev_b32_e32 v6, v6, v16
	v_cmp_ne_u32_e32 vcc_lo, v11, v13
	v_lshl_or_b32 v13, v10, 12, v4
	v_cndmask_b32_e64 v11, 0, 1, vcc_lo
	v_cmp_ne_u32_e32 vcc_lo, v6, v14
	v_lshl_or_b32 v14, v12, 12, v8
	v_or_b32_e32 v11, v15, v11
	v_cndmask_b32_e64 v6, 0, 1, vcc_lo
	v_cmp_gt_i32_e32 vcc_lo, 1, v10
	v_or_b32_e32 v6, v16, v6
	v_cndmask_b32_e32 v11, v13, v11, vcc_lo
	v_cmp_gt_i32_e32 vcc_lo, 1, v12
	v_and_b32_e32 v13, 7, v11
	v_cndmask_b32_e32 v6, v14, v6, vcc_lo
	v_cmp_ne_u32_e32 vcc_lo, 0, v4
	v_lshrrev_b32_e32 v11, 2, v11
	v_cmp_eq_u32_e64 s0, 3, v13
	v_and_b32_e32 v14, 7, v6
	v_cndmask_b32_e64 v4, 0, 1, vcc_lo
	v_cmp_ne_u32_e32 vcc_lo, 0, v8
	v_lshrrev_b32_e32 v6, 2, v6
	v_cmp_lt_i32_e64 s1, 5, v14
	v_cmp_eq_u32_e64 s2, 3, v14
	v_cndmask_b32_e64 v8, 0, 1, vcc_lo
	v_cmp_lt_i32_e32 vcc_lo, 5, v13
	v_lshl_or_b32 v4, v4, 9, 0x7c00
	v_lshl_or_b32 v8, v8, 9, 0x7c00
	s_or_b32 vcc_lo, s0, vcc_lo
	v_add_co_ci_u32_e32 v11, vcc_lo, 0, v11, vcc_lo
	s_or_b32 vcc_lo, s2, s1
	v_add_co_ci_u32_e32 v6, vcc_lo, 0, v6, vcc_lo
	v_cmp_gt_i32_e32 vcc_lo, 31, v10
	v_cndmask_b32_e32 v11, 0x7c00, v11, vcc_lo
	v_cmp_gt_i32_e32 vcc_lo, 31, v12
	v_cndmask_b32_e32 v6, 0x7c00, v6, vcc_lo
	v_cmp_eq_u32_e32 vcc_lo, 0x40f, v10
	v_cndmask_b32_e32 v4, v11, v4, vcc_lo
	v_cmp_eq_u32_e32 vcc_lo, 0x40f, v12
	v_and_or_b32 v4, 0x8000, v7, v4
	v_cndmask_b32_e32 v6, v6, v8, vcc_lo
	v_add_co_u32 v0, vcc_lo, v0, s6
	v_add_co_ci_u32_e32 v1, vcc_lo, s3, v1, vcc_lo
	v_and_or_b32 v6, 0x8000, v9, v6
	v_and_b32_e32 v4, 0xffff, v4
	v_lshl_or_b32 v4, v6, 16, v4
	v_lshlrev_b32_e32 v6, 2, v36
	global_store_dword v[0:1], v4, off
	global_load_dword v0, v6, s[12:13]
	v_lshrrev_b32_e32 v1, 16, v5
	s_waitcnt vmcnt(0)
	v_mul_f16_sdwa v4, v1, v0 dst_sel:DWORD dst_unused:UNUSED_PAD src0_sel:DWORD src1_sel:WORD_1
	v_mul_f16_sdwa v6, v5, v0 dst_sel:DWORD dst_unused:UNUSED_PAD src0_sel:DWORD src1_sel:WORD_1
	v_fmac_f16_e32 v4, v5, v0
	v_fma_f16 v0, v0, v1, -v6
	v_cvt_f32_f16_e32 v1, v4
	v_cvt_f32_f16_e32 v4, v0
	v_cvt_f64_f32_e32 v[0:1], v1
	v_cvt_f64_f32_e32 v[4:5], v4
	v_mul_f64 v[0:1], v[0:1], s[8:9]
	v_mul_f64 v[4:5], v[4:5], s[8:9]
	v_and_or_b32 v0, 0x1ff, v1, v0
	v_and_or_b32 v4, 0x1ff, v5, v4
	v_lshrrev_b32_e32 v6, 8, v1
	v_bfe_u32 v8, v1, 20, 11
	v_bfe_u32 v9, v5, 20, 11
	v_cmp_ne_u32_e32 vcc_lo, 0, v0
	v_lshrrev_b32_e32 v7, 8, v5
	v_lshrrev_b32_e32 v5, 16, v5
	v_sub_nc_u32_e32 v10, 0x3f1, v8
	v_sub_nc_u32_e32 v11, 0x3f1, v9
	v_cndmask_b32_e64 v0, 0, 1, vcc_lo
	v_cmp_ne_u32_e32 vcc_lo, 0, v4
	v_add_nc_u32_e32 v9, 0xfffffc10, v9
	v_and_or_b32 v12, 0xffe, v6, v0
	v_cndmask_b32_e64 v4, 0, 1, vcc_lo
	v_med3_i32 v0, v10, 0, 13
	v_med3_i32 v10, v11, 0, 13
	v_or_b32_e32 v11, 0x1000, v12
	v_and_or_b32 v4, 0xffe, v7, v4
	v_mad_u64_u32 v[6:7], null, s4, v36, 0
	v_lshrrev_b32_e32 v14, v0, v11
	v_or_b32_e32 v13, 0x1000, v4
	v_lshlrev_b32_e32 v16, v0, v14
	v_lshrrev_b32_e32 v15, v10, v13
	v_mov_b32_e32 v0, v7
	v_cmp_ne_u32_e32 vcc_lo, v16, v11
	v_lshlrev_b32_e32 v7, v10, v15
	v_add_nc_u32_e32 v10, 0xfffffc10, v8
	v_cndmask_b32_e64 v11, 0, 1, vcc_lo
	v_cmp_ne_u32_e32 vcc_lo, v7, v13
	v_mad_u64_u32 v[7:8], null, s5, v36, v[0:1]
	v_lshl_or_b32 v0, v10, 12, v12
	v_or_b32_e32 v8, v14, v11
	v_cndmask_b32_e64 v13, 0, 1, vcc_lo
	v_cmp_gt_i32_e32 vcc_lo, 1, v10
	v_lshl_or_b32 v11, v9, 12, v4
	v_lshrrev_b32_e32 v1, 16, v1
	v_or_b32_e32 v13, v15, v13
	v_cndmask_b32_e32 v0, v0, v8, vcc_lo
	v_cmp_gt_i32_e32 vcc_lo, 1, v9
	v_cndmask_b32_e32 v8, v11, v13, vcc_lo
	v_cmp_ne_u32_e32 vcc_lo, 0, v12
	v_and_b32_e32 v12, 7, v0
	v_lshrrev_b32_e32 v0, 2, v0
	v_and_b32_e32 v13, 7, v8
	v_cndmask_b32_e64 v11, 0, 1, vcc_lo
	v_cmp_ne_u32_e32 vcc_lo, 0, v4
	v_cmp_eq_u32_e64 s0, 3, v12
	v_lshrrev_b32_e32 v8, 2, v8
	v_cmp_lt_i32_e64 s1, 5, v13
	v_cmp_eq_u32_e64 s2, 3, v13
	v_cndmask_b32_e64 v4, 0, 1, vcc_lo
	v_cmp_lt_i32_e32 vcc_lo, 5, v12
	v_lshl_or_b32 v11, v11, 9, 0x7c00
	v_lshl_or_b32 v4, v4, 9, 0x7c00
	s_or_b32 vcc_lo, s0, vcc_lo
	v_add_co_ci_u32_e32 v0, vcc_lo, 0, v0, vcc_lo
	s_or_b32 vcc_lo, s2, s1
	v_add_co_ci_u32_e32 v8, vcc_lo, 0, v8, vcc_lo
	v_cmp_gt_i32_e32 vcc_lo, 31, v10
	v_cndmask_b32_e32 v0, 0x7c00, v0, vcc_lo
	v_cmp_gt_i32_e32 vcc_lo, 31, v9
	v_cndmask_b32_e32 v8, 0x7c00, v8, vcc_lo
	v_cmp_eq_u32_e32 vcc_lo, 0x40f, v10
	v_cndmask_b32_e32 v0, v0, v11, vcc_lo
	v_cmp_eq_u32_e32 vcc_lo, 0x40f, v9
	v_and_or_b32 v0, 0x8000, v1, v0
	v_cndmask_b32_e32 v4, v8, v4, vcc_lo
	v_and_or_b32 v4, 0x8000, v5, v4
	v_and_b32_e32 v5, 0xffff, v0
	v_lshlrev_b64 v[0:1], 2, v[6:7]
	v_lshl_or_b32 v4, v4, 16, v5
	v_add_co_u32 v0, vcc_lo, v2, v0
	v_add_co_ci_u32_e32 v1, vcc_lo, v3, v1, vcc_lo
	global_store_dword v[0:1], v4, off
.LBB0_23:
	s_endpgm
	.section	.rodata,"a",@progbits
	.p2align	6, 0x0
	.amdhsa_kernel bluestein_single_fwd_len1496_dim1_half_op_CI_CI
		.amdhsa_group_segment_fixed_size 5984
		.amdhsa_private_segment_fixed_size 0
		.amdhsa_kernarg_size 104
		.amdhsa_user_sgpr_count 6
		.amdhsa_user_sgpr_private_segment_buffer 1
		.amdhsa_user_sgpr_dispatch_ptr 0
		.amdhsa_user_sgpr_queue_ptr 0
		.amdhsa_user_sgpr_kernarg_segment_ptr 1
		.amdhsa_user_sgpr_dispatch_id 0
		.amdhsa_user_sgpr_flat_scratch_init 0
		.amdhsa_user_sgpr_private_segment_size 0
		.amdhsa_wavefront_size32 1
		.amdhsa_uses_dynamic_stack 0
		.amdhsa_system_sgpr_private_segment_wavefront_offset 0
		.amdhsa_system_sgpr_workgroup_id_x 1
		.amdhsa_system_sgpr_workgroup_id_y 0
		.amdhsa_system_sgpr_workgroup_id_z 0
		.amdhsa_system_sgpr_workgroup_info 0
		.amdhsa_system_vgpr_workitem_id 0
		.amdhsa_next_free_vgpr 191
		.amdhsa_next_free_sgpr 16
		.amdhsa_reserve_vcc 1
		.amdhsa_reserve_flat_scratch 0
		.amdhsa_float_round_mode_32 0
		.amdhsa_float_round_mode_16_64 0
		.amdhsa_float_denorm_mode_32 3
		.amdhsa_float_denorm_mode_16_64 3
		.amdhsa_dx10_clamp 1
		.amdhsa_ieee_mode 1
		.amdhsa_fp16_overflow 0
		.amdhsa_workgroup_processor_mode 1
		.amdhsa_memory_ordered 1
		.amdhsa_forward_progress 0
		.amdhsa_shared_vgpr_count 0
		.amdhsa_exception_fp_ieee_invalid_op 0
		.amdhsa_exception_fp_denorm_src 0
		.amdhsa_exception_fp_ieee_div_zero 0
		.amdhsa_exception_fp_ieee_overflow 0
		.amdhsa_exception_fp_ieee_underflow 0
		.amdhsa_exception_fp_ieee_inexact 0
		.amdhsa_exception_int_div_zero 0
	.end_amdhsa_kernel
	.text
.Lfunc_end0:
	.size	bluestein_single_fwd_len1496_dim1_half_op_CI_CI, .Lfunc_end0-bluestein_single_fwd_len1496_dim1_half_op_CI_CI
                                        ; -- End function
	.section	.AMDGPU.csdata,"",@progbits
; Kernel info:
; codeLenInByte = 30824
; NumSgprs: 18
; NumVgprs: 191
; ScratchSize: 0
; MemoryBound: 0
; FloatMode: 240
; IeeeMode: 1
; LDSByteSize: 5984 bytes/workgroup (compile time only)
; SGPRBlocks: 2
; VGPRBlocks: 23
; NumSGPRsForWavesPerEU: 18
; NumVGPRsForWavesPerEU: 191
; Occupancy: 5
; WaveLimiterHint : 1
; COMPUTE_PGM_RSRC2:SCRATCH_EN: 0
; COMPUTE_PGM_RSRC2:USER_SGPR: 6
; COMPUTE_PGM_RSRC2:TRAP_HANDLER: 0
; COMPUTE_PGM_RSRC2:TGID_X_EN: 1
; COMPUTE_PGM_RSRC2:TGID_Y_EN: 0
; COMPUTE_PGM_RSRC2:TGID_Z_EN: 0
; COMPUTE_PGM_RSRC2:TIDIG_COMP_CNT: 0
	.text
	.p2alignl 6, 3214868480
	.fill 48, 4, 3214868480
	.type	__hip_cuid_1e439be429fe59a3,@object ; @__hip_cuid_1e439be429fe59a3
	.section	.bss,"aw",@nobits
	.globl	__hip_cuid_1e439be429fe59a3
__hip_cuid_1e439be429fe59a3:
	.byte	0                               ; 0x0
	.size	__hip_cuid_1e439be429fe59a3, 1

	.ident	"AMD clang version 19.0.0git (https://github.com/RadeonOpenCompute/llvm-project roc-6.4.0 25133 c7fe45cf4b819c5991fe208aaa96edf142730f1d)"
	.section	".note.GNU-stack","",@progbits
	.addrsig
	.addrsig_sym __hip_cuid_1e439be429fe59a3
	.amdgpu_metadata
---
amdhsa.kernels:
  - .args:
      - .actual_access:  read_only
        .address_space:  global
        .offset:         0
        .size:           8
        .value_kind:     global_buffer
      - .actual_access:  read_only
        .address_space:  global
        .offset:         8
        .size:           8
        .value_kind:     global_buffer
      - .actual_access:  read_only
        .address_space:  global
        .offset:         16
        .size:           8
        .value_kind:     global_buffer
      - .actual_access:  read_only
        .address_space:  global
        .offset:         24
        .size:           8
        .value_kind:     global_buffer
      - .actual_access:  read_only
        .address_space:  global
        .offset:         32
        .size:           8
        .value_kind:     global_buffer
      - .offset:         40
        .size:           8
        .value_kind:     by_value
      - .address_space:  global
        .offset:         48
        .size:           8
        .value_kind:     global_buffer
      - .address_space:  global
        .offset:         56
        .size:           8
        .value_kind:     global_buffer
      - .address_space:  global
        .offset:         64
        .size:           8
        .value_kind:     global_buffer
      - .address_space:  global
        .offset:         72
        .size:           8
        .value_kind:     global_buffer
      - .offset:         80
        .size:           4
        .value_kind:     by_value
      - .address_space:  global
        .offset:         88
        .size:           8
        .value_kind:     global_buffer
      - .address_space:  global
        .offset:         96
        .size:           8
        .value_kind:     global_buffer
    .group_segment_fixed_size: 5984
    .kernarg_segment_align: 8
    .kernarg_segment_size: 104
    .language:       OpenCL C
    .language_version:
      - 2
      - 0
    .max_flat_workgroup_size: 187
    .name:           bluestein_single_fwd_len1496_dim1_half_op_CI_CI
    .private_segment_fixed_size: 0
    .sgpr_count:     18
    .sgpr_spill_count: 0
    .symbol:         bluestein_single_fwd_len1496_dim1_half_op_CI_CI.kd
    .uniform_work_group_size: 1
    .uses_dynamic_stack: false
    .vgpr_count:     191
    .vgpr_spill_count: 0
    .wavefront_size: 32
    .workgroup_processor_mode: 1
amdhsa.target:   amdgcn-amd-amdhsa--gfx1030
amdhsa.version:
  - 1
  - 2
...

	.end_amdgpu_metadata
